;; amdgpu-corpus repo=ROCm/rocSPARSE kind=compiled arch=gfx906 opt=O3
	.amdgcn_target "amdgcn-amd-amdhsa--gfx906"
	.amdhsa_code_object_version 6
	.section	.text._ZN9rocsparseL20gebsr2csr_nnz_kernelILi256ELi32EEEvii21rocsparse_index_base_PKiS3_iiS1_PiS4_,"axG",@progbits,_ZN9rocsparseL20gebsr2csr_nnz_kernelILi256ELi32EEEvii21rocsparse_index_base_PKiS3_iiS1_PiS4_,comdat
	.globl	_ZN9rocsparseL20gebsr2csr_nnz_kernelILi256ELi32EEEvii21rocsparse_index_base_PKiS3_iiS1_PiS4_ ; -- Begin function _ZN9rocsparseL20gebsr2csr_nnz_kernelILi256ELi32EEEvii21rocsparse_index_base_PKiS3_iiS1_PiS4_
	.p2align	8
	.type	_ZN9rocsparseL20gebsr2csr_nnz_kernelILi256ELi32EEEvii21rocsparse_index_base_PKiS3_iiS1_PiS4_,@function
_ZN9rocsparseL20gebsr2csr_nnz_kernelILi256ELi32EEEvii21rocsparse_index_base_PKiS3_iiS1_PiS4_: ; @_ZN9rocsparseL20gebsr2csr_nnz_kernelILi256ELi32EEEvii21rocsparse_index_base_PKiS3_iiS1_PiS4_
; %bb.0:
	s_load_dword s0, s[4:5], 0x4c
	s_load_dword s1, s[4:5], 0x0
	s_load_dwordx4 s[8:11], s[4:5], 0x20
	s_waitcnt lgkmcnt(0)
	s_and_b32 s0, s0, 0xffff
	s_mul_i32 s6, s6, s0
	v_add_u32_e32 v4, s6, v0
	v_ashrrev_i32_e32 v0, 31, v4
	v_lshrrev_b32_e32 v0, 27, v0
	v_add_u32_e32 v0, v4, v0
	v_ashrrev_i32_e32 v0, 5, v0
	s_mul_i32 s0, s8, s1
	v_cmp_gt_i32_e32 vcc, s0, v0
	s_and_saveexec_b64 s[0:1], vcc
	s_cbranch_execz .LBB0_9
; %bb.1:
	s_abs_i32 s6, s8
	v_cvt_f32_u32_e32 v1, s6
	s_sub_i32 s0, 0, s6
	v_sub_u32_e32 v3, 0, v0
	v_max_i32_e32 v3, v0, v3
	v_rcp_iflag_f32_e32 v1, v1
	v_mul_f32_e32 v1, 0x4f7ffffe, v1
	v_cvt_u32_f32_e32 v1, v1
	v_mul_lo_u32 v2, s0, v1
	s_load_dwordx2 s[2:3], s[4:5], 0x10
	s_load_dwordx2 s[0:1], s[4:5], 0x30
	v_mul_hi_u32 v2, v1, v2
	s_waitcnt lgkmcnt(0)
	v_mov_b32_e32 v6, s3
	v_add_u32_e32 v1, v1, v2
	v_mul_hi_u32 v1, v3, v1
	v_xor_b32_e32 v2, s8, v0
	v_ashrrev_i32_e32 v2, 31, v2
	v_mul_lo_u32 v5, v1, s6
	v_add_u32_e32 v7, 1, v1
	v_sub_u32_e32 v3, v3, v5
	v_cmp_le_u32_e32 vcc, s6, v3
	v_subrev_u32_e32 v5, s6, v3
	v_cndmask_b32_e32 v1, v1, v7, vcc
	v_cndmask_b32_e32 v3, v3, v5, vcc
	v_add_u32_e32 v5, 1, v1
	v_cmp_le_u32_e32 vcc, s6, v3
	v_cndmask_b32_e32 v1, v1, v5, vcc
	v_xor_b32_e32 v1, v1, v2
	v_sub_u32_e32 v1, v1, v2
	v_ashrrev_i32_e32 v2, 31, v1
	v_lshlrev_b64 v[2:3], 2, v[1:2]
	v_add_u32_e32 v5, 31, v4
	v_add_co_u32_e32 v2, vcc, s2, v2
	v_addc_co_u32_e32 v3, vcc, v6, v3, vcc
	global_load_dwordx2 v[2:3], v[2:3], off
	v_cmp_gt_u32_e32 vcc, 63, v5
	s_and_saveexec_b64 s[2:3], vcc
	s_cbranch_execz .LBB0_3
; %bb.2:
	v_mov_b32_e32 v5, 0
	v_mov_b32_e32 v6, s10
	global_store_dword v5, v6, s[0:1]
.LBB0_3:
	s_or_b64 exec, exec, s[2:3]
	s_load_dword s11, s[4:5], 0x8
	s_mul_i32 s2, s9, s8
	v_mul_lo_u32 v7, v1, s8
	s_waitcnt vmcnt(0) lgkmcnt(0)
	v_subrev_u32_e32 v2, s11, v2
	v_subrev_u32_e32 v5, s11, v3
	v_sub_u32_e32 v6, v5, v2
	v_mul_lo_u32 v1, s2, v2
	v_mul_lo_u32 v10, v6, s9
	v_sub_u32_e32 v7, v0, v7
	v_lshlrev_b32_e32 v3, 5, v0
	v_mad_u64_u32 v[8:9], s[2:3], v10, v7, v[1:2]
	v_ashrrev_i32_e32 v1, 31, v0
	v_lshlrev_b64 v[0:1], 2, v[0:1]
	v_add3_u32 v8, v10, s10, v8
	v_mov_b32_e32 v10, s1
	v_add_co_u32_e32 v0, vcc, s0, v0
	v_sub_u32_e32 v9, v4, v3
	v_addc_co_u32_e32 v1, vcc, v10, v1, vcc
	global_store_dword v[0:1], v8, off offset:4
	v_add_u32_e32 v0, v2, v9
	v_cmp_lt_i32_e32 vcc, v0, v5
	s_and_b64 exec, exec, vcc
	s_cbranch_execz .LBB0_9
; %bb.4:
	v_mul_lo_u32 v1, s8, v2
	v_mul_lo_u32 v2, v7, v6
	s_load_dwordx2 s[2:3], s[4:5], 0x18
	s_load_dwordx2 s[6:7], s[4:5], 0x38
	s_cmp_gt_i32 s9, 0
	s_cselect_b64 s[0:1], -1, 0
	v_add3_u32 v1, v4, v1, v2
	v_sub_u32_e32 v1, v1, v3
	v_mul_lo_u32 v2, s9, v1
	v_cndmask_b32_e64 v1, 0, 1, s[0:1]
	s_lshl_b32 s8, s9, 5
	s_mov_b64 s[4:5], 0
	v_cmp_ne_u32_e64 s[0:1], 1, v1
	s_branch .LBB0_6
.LBB0_5:                                ;   in Loop: Header=BB0_6 Depth=1
	v_add_u32_e32 v0, 32, v0
	v_cmp_ge_i32_e32 vcc, v0, v5
	s_or_b64 s[4:5], vcc, s[4:5]
	v_add_u32_e32 v2, s8, v2
	s_andn2_b64 exec, exec, s[4:5]
	s_cbranch_execz .LBB0_9
.LBB0_6:                                ; =>This Loop Header: Depth=1
                                        ;     Child Loop BB0_8 Depth 2
	s_and_b64 vcc, exec, s[0:1]
	s_cbranch_vccnz .LBB0_5
; %bb.7:                                ;   in Loop: Header=BB0_6 Depth=1
	v_ashrrev_i32_e32 v1, 31, v0
	v_lshlrev_b64 v[3:4], 2, v[0:1]
	s_waitcnt lgkmcnt(0)
	v_mov_b32_e32 v1, s3
	v_add_co_u32_e32 v3, vcc, s2, v3
	v_addc_co_u32_e32 v4, vcc, v1, v4, vcc
	global_load_dword v1, v[3:4], off
	v_ashrrev_i32_e32 v3, 31, v2
	v_lshlrev_b64 v[3:4], 2, v[2:3]
	v_mov_b32_e32 v6, s7
	v_add_co_u32_e32 v3, vcc, s6, v3
	v_addc_co_u32_e32 v4, vcc, v6, v4, vcc
	s_mov_b32 s12, s9
	s_waitcnt vmcnt(0)
	v_subrev_u32_e32 v1, s11, v1
	v_mul_lo_u32 v1, v1, s9
	v_add_u32_e32 v1, s10, v1
.LBB0_8:                                ;   Parent Loop BB0_6 Depth=1
                                        ; =>  This Inner Loop Header: Depth=2
	global_store_dword v[3:4], v1, off
	s_add_i32 s12, s12, -1
	v_add_co_u32_e32 v3, vcc, 4, v3
	v_addc_co_u32_e32 v4, vcc, 0, v4, vcc
	s_cmp_eq_u32 s12, 0
	v_add_u32_e32 v1, 1, v1
	s_cbranch_scc0 .LBB0_8
	s_branch .LBB0_5
.LBB0_9:
	s_endpgm
	.section	.rodata,"a",@progbits
	.p2align	6, 0x0
	.amdhsa_kernel _ZN9rocsparseL20gebsr2csr_nnz_kernelILi256ELi32EEEvii21rocsparse_index_base_PKiS3_iiS1_PiS4_
		.amdhsa_group_segment_fixed_size 0
		.amdhsa_private_segment_fixed_size 0
		.amdhsa_kernarg_size 320
		.amdhsa_user_sgpr_count 6
		.amdhsa_user_sgpr_private_segment_buffer 1
		.amdhsa_user_sgpr_dispatch_ptr 0
		.amdhsa_user_sgpr_queue_ptr 0
		.amdhsa_user_sgpr_kernarg_segment_ptr 1
		.amdhsa_user_sgpr_dispatch_id 0
		.amdhsa_user_sgpr_flat_scratch_init 0
		.amdhsa_user_sgpr_private_segment_size 0
		.amdhsa_uses_dynamic_stack 0
		.amdhsa_system_sgpr_private_segment_wavefront_offset 0
		.amdhsa_system_sgpr_workgroup_id_x 1
		.amdhsa_system_sgpr_workgroup_id_y 0
		.amdhsa_system_sgpr_workgroup_id_z 0
		.amdhsa_system_sgpr_workgroup_info 0
		.amdhsa_system_vgpr_workitem_id 0
		.amdhsa_next_free_vgpr 11
		.amdhsa_next_free_sgpr 13
		.amdhsa_reserve_vcc 1
		.amdhsa_reserve_flat_scratch 0
		.amdhsa_float_round_mode_32 0
		.amdhsa_float_round_mode_16_64 0
		.amdhsa_float_denorm_mode_32 3
		.amdhsa_float_denorm_mode_16_64 3
		.amdhsa_dx10_clamp 1
		.amdhsa_ieee_mode 1
		.amdhsa_fp16_overflow 0
		.amdhsa_exception_fp_ieee_invalid_op 0
		.amdhsa_exception_fp_denorm_src 0
		.amdhsa_exception_fp_ieee_div_zero 0
		.amdhsa_exception_fp_ieee_overflow 0
		.amdhsa_exception_fp_ieee_underflow 0
		.amdhsa_exception_fp_ieee_inexact 0
		.amdhsa_exception_int_div_zero 0
	.end_amdhsa_kernel
	.section	.text._ZN9rocsparseL20gebsr2csr_nnz_kernelILi256ELi32EEEvii21rocsparse_index_base_PKiS3_iiS1_PiS4_,"axG",@progbits,_ZN9rocsparseL20gebsr2csr_nnz_kernelILi256ELi32EEEvii21rocsparse_index_base_PKiS3_iiS1_PiS4_,comdat
.Lfunc_end0:
	.size	_ZN9rocsparseL20gebsr2csr_nnz_kernelILi256ELi32EEEvii21rocsparse_index_base_PKiS3_iiS1_PiS4_, .Lfunc_end0-_ZN9rocsparseL20gebsr2csr_nnz_kernelILi256ELi32EEEvii21rocsparse_index_base_PKiS3_iiS1_PiS4_
                                        ; -- End function
	.set _ZN9rocsparseL20gebsr2csr_nnz_kernelILi256ELi32EEEvii21rocsparse_index_base_PKiS3_iiS1_PiS4_.num_vgpr, 11
	.set _ZN9rocsparseL20gebsr2csr_nnz_kernelILi256ELi32EEEvii21rocsparse_index_base_PKiS3_iiS1_PiS4_.num_agpr, 0
	.set _ZN9rocsparseL20gebsr2csr_nnz_kernelILi256ELi32EEEvii21rocsparse_index_base_PKiS3_iiS1_PiS4_.numbered_sgpr, 13
	.set _ZN9rocsparseL20gebsr2csr_nnz_kernelILi256ELi32EEEvii21rocsparse_index_base_PKiS3_iiS1_PiS4_.num_named_barrier, 0
	.set _ZN9rocsparseL20gebsr2csr_nnz_kernelILi256ELi32EEEvii21rocsparse_index_base_PKiS3_iiS1_PiS4_.private_seg_size, 0
	.set _ZN9rocsparseL20gebsr2csr_nnz_kernelILi256ELi32EEEvii21rocsparse_index_base_PKiS3_iiS1_PiS4_.uses_vcc, 1
	.set _ZN9rocsparseL20gebsr2csr_nnz_kernelILi256ELi32EEEvii21rocsparse_index_base_PKiS3_iiS1_PiS4_.uses_flat_scratch, 0
	.set _ZN9rocsparseL20gebsr2csr_nnz_kernelILi256ELi32EEEvii21rocsparse_index_base_PKiS3_iiS1_PiS4_.has_dyn_sized_stack, 0
	.set _ZN9rocsparseL20gebsr2csr_nnz_kernelILi256ELi32EEEvii21rocsparse_index_base_PKiS3_iiS1_PiS4_.has_recursion, 0
	.set _ZN9rocsparseL20gebsr2csr_nnz_kernelILi256ELi32EEEvii21rocsparse_index_base_PKiS3_iiS1_PiS4_.has_indirect_call, 0
	.section	.AMDGPU.csdata,"",@progbits
; Kernel info:
; codeLenInByte = 660
; TotalNumSgprs: 17
; NumVgprs: 11
; ScratchSize: 0
; MemoryBound: 0
; FloatMode: 240
; IeeeMode: 1
; LDSByteSize: 0 bytes/workgroup (compile time only)
; SGPRBlocks: 2
; VGPRBlocks: 2
; NumSGPRsForWavesPerEU: 17
; NumVGPRsForWavesPerEU: 11
; Occupancy: 10
; WaveLimiterHint : 0
; COMPUTE_PGM_RSRC2:SCRATCH_EN: 0
; COMPUTE_PGM_RSRC2:USER_SGPR: 6
; COMPUTE_PGM_RSRC2:TRAP_HANDLER: 0
; COMPUTE_PGM_RSRC2:TGID_X_EN: 1
; COMPUTE_PGM_RSRC2:TGID_Y_EN: 0
; COMPUTE_PGM_RSRC2:TGID_Z_EN: 0
; COMPUTE_PGM_RSRC2:TIDIG_COMP_CNT: 0
	.section	.text._ZN9rocsparseL20gebsr2csr_nnz_kernelILi256ELi64EEEvii21rocsparse_index_base_PKiS3_iiS1_PiS4_,"axG",@progbits,_ZN9rocsparseL20gebsr2csr_nnz_kernelILi256ELi64EEEvii21rocsparse_index_base_PKiS3_iiS1_PiS4_,comdat
	.globl	_ZN9rocsparseL20gebsr2csr_nnz_kernelILi256ELi64EEEvii21rocsparse_index_base_PKiS3_iiS1_PiS4_ ; -- Begin function _ZN9rocsparseL20gebsr2csr_nnz_kernelILi256ELi64EEEvii21rocsparse_index_base_PKiS3_iiS1_PiS4_
	.p2align	8
	.type	_ZN9rocsparseL20gebsr2csr_nnz_kernelILi256ELi64EEEvii21rocsparse_index_base_PKiS3_iiS1_PiS4_,@function
_ZN9rocsparseL20gebsr2csr_nnz_kernelILi256ELi64EEEvii21rocsparse_index_base_PKiS3_iiS1_PiS4_: ; @_ZN9rocsparseL20gebsr2csr_nnz_kernelILi256ELi64EEEvii21rocsparse_index_base_PKiS3_iiS1_PiS4_
; %bb.0:
	s_load_dword s0, s[4:5], 0x4c
	s_load_dword s1, s[4:5], 0x0
	s_load_dwordx4 s[8:11], s[4:5], 0x20
	s_waitcnt lgkmcnt(0)
	s_and_b32 s0, s0, 0xffff
	s_mul_i32 s6, s6, s0
	v_add_u32_e32 v4, s6, v0
	v_ashrrev_i32_e32 v0, 31, v4
	v_lshrrev_b32_e32 v0, 26, v0
	v_add_u32_e32 v0, v4, v0
	v_ashrrev_i32_e32 v0, 6, v0
	s_mul_i32 s0, s8, s1
	v_cmp_gt_i32_e32 vcc, s0, v0
	s_and_saveexec_b64 s[0:1], vcc
	s_cbranch_execz .LBB1_9
; %bb.1:
	s_abs_i32 s6, s8
	v_cvt_f32_u32_e32 v1, s6
	s_sub_i32 s0, 0, s6
	v_sub_u32_e32 v3, 0, v0
	v_max_i32_e32 v3, v0, v3
	v_rcp_iflag_f32_e32 v1, v1
	v_mul_f32_e32 v1, 0x4f7ffffe, v1
	v_cvt_u32_f32_e32 v1, v1
	v_mul_lo_u32 v2, s0, v1
	s_load_dwordx2 s[2:3], s[4:5], 0x10
	s_load_dwordx2 s[0:1], s[4:5], 0x30
	v_mul_hi_u32 v2, v1, v2
	s_waitcnt lgkmcnt(0)
	v_mov_b32_e32 v6, s3
	v_add_u32_e32 v1, v1, v2
	v_mul_hi_u32 v1, v3, v1
	v_xor_b32_e32 v2, s8, v0
	v_ashrrev_i32_e32 v2, 31, v2
	v_mul_lo_u32 v5, v1, s6
	v_add_u32_e32 v7, 1, v1
	v_sub_u32_e32 v3, v3, v5
	v_cmp_le_u32_e32 vcc, s6, v3
	v_subrev_u32_e32 v5, s6, v3
	v_cndmask_b32_e32 v1, v1, v7, vcc
	v_cndmask_b32_e32 v3, v3, v5, vcc
	v_add_u32_e32 v5, 1, v1
	v_cmp_le_u32_e32 vcc, s6, v3
	v_cndmask_b32_e32 v1, v1, v5, vcc
	v_xor_b32_e32 v1, v1, v2
	v_sub_u32_e32 v1, v1, v2
	v_ashrrev_i32_e32 v2, 31, v1
	v_lshlrev_b64 v[2:3], 2, v[1:2]
	v_add_u32_e32 v5, 63, v4
	v_add_co_u32_e32 v2, vcc, s2, v2
	v_addc_co_u32_e32 v3, vcc, v6, v3, vcc
	global_load_dwordx2 v[2:3], v[2:3], off
	s_movk_i32 s2, 0x7f
	v_cmp_gt_u32_e32 vcc, s2, v5
	s_and_saveexec_b64 s[2:3], vcc
	s_cbranch_execz .LBB1_3
; %bb.2:
	v_mov_b32_e32 v5, 0
	v_mov_b32_e32 v6, s10
	global_store_dword v5, v6, s[0:1]
.LBB1_3:
	s_or_b64 exec, exec, s[2:3]
	s_load_dword s11, s[4:5], 0x8
	s_mul_i32 s2, s9, s8
	v_mul_lo_u32 v7, v1, s8
	s_waitcnt vmcnt(0) lgkmcnt(0)
	v_subrev_u32_e32 v2, s11, v2
	v_subrev_u32_e32 v5, s11, v3
	v_sub_u32_e32 v6, v5, v2
	v_mul_lo_u32 v1, s2, v2
	v_mul_lo_u32 v10, v6, s9
	v_sub_u32_e32 v7, v0, v7
	v_lshlrev_b32_e32 v3, 6, v0
	v_mad_u64_u32 v[8:9], s[2:3], v10, v7, v[1:2]
	v_ashrrev_i32_e32 v1, 31, v0
	v_lshlrev_b64 v[0:1], 2, v[0:1]
	v_add3_u32 v8, v10, s10, v8
	v_mov_b32_e32 v10, s1
	v_add_co_u32_e32 v0, vcc, s0, v0
	v_sub_u32_e32 v9, v4, v3
	v_addc_co_u32_e32 v1, vcc, v10, v1, vcc
	global_store_dword v[0:1], v8, off offset:4
	v_add_u32_e32 v0, v2, v9
	v_cmp_lt_i32_e32 vcc, v0, v5
	s_and_b64 exec, exec, vcc
	s_cbranch_execz .LBB1_9
; %bb.4:
	v_mul_lo_u32 v1, s8, v2
	v_mul_lo_u32 v2, v7, v6
	s_load_dwordx2 s[2:3], s[4:5], 0x18
	s_load_dwordx2 s[6:7], s[4:5], 0x38
	s_cmp_gt_i32 s9, 0
	s_cselect_b64 s[0:1], -1, 0
	v_add3_u32 v1, v4, v1, v2
	v_sub_u32_e32 v1, v1, v3
	v_mul_lo_u32 v2, s9, v1
	v_cndmask_b32_e64 v1, 0, 1, s[0:1]
	s_lshl_b32 s8, s9, 6
	s_mov_b64 s[4:5], 0
	v_cmp_ne_u32_e64 s[0:1], 1, v1
	s_branch .LBB1_6
.LBB1_5:                                ;   in Loop: Header=BB1_6 Depth=1
	v_add_u32_e32 v0, 64, v0
	v_cmp_ge_i32_e32 vcc, v0, v5
	s_or_b64 s[4:5], vcc, s[4:5]
	v_add_u32_e32 v2, s8, v2
	s_andn2_b64 exec, exec, s[4:5]
	s_cbranch_execz .LBB1_9
.LBB1_6:                                ; =>This Loop Header: Depth=1
                                        ;     Child Loop BB1_8 Depth 2
	s_and_b64 vcc, exec, s[0:1]
	s_cbranch_vccnz .LBB1_5
; %bb.7:                                ;   in Loop: Header=BB1_6 Depth=1
	v_ashrrev_i32_e32 v1, 31, v0
	v_lshlrev_b64 v[3:4], 2, v[0:1]
	s_waitcnt lgkmcnt(0)
	v_mov_b32_e32 v1, s3
	v_add_co_u32_e32 v3, vcc, s2, v3
	v_addc_co_u32_e32 v4, vcc, v1, v4, vcc
	global_load_dword v1, v[3:4], off
	v_ashrrev_i32_e32 v3, 31, v2
	v_lshlrev_b64 v[3:4], 2, v[2:3]
	v_mov_b32_e32 v6, s7
	v_add_co_u32_e32 v3, vcc, s6, v3
	v_addc_co_u32_e32 v4, vcc, v6, v4, vcc
	s_mov_b32 s12, s9
	s_waitcnt vmcnt(0)
	v_subrev_u32_e32 v1, s11, v1
	v_mul_lo_u32 v1, v1, s9
	v_add_u32_e32 v1, s10, v1
.LBB1_8:                                ;   Parent Loop BB1_6 Depth=1
                                        ; =>  This Inner Loop Header: Depth=2
	global_store_dword v[3:4], v1, off
	s_add_i32 s12, s12, -1
	v_add_co_u32_e32 v3, vcc, 4, v3
	v_addc_co_u32_e32 v4, vcc, 0, v4, vcc
	s_cmp_eq_u32 s12, 0
	v_add_u32_e32 v1, 1, v1
	s_cbranch_scc0 .LBB1_8
	s_branch .LBB1_5
.LBB1_9:
	s_endpgm
	.section	.rodata,"a",@progbits
	.p2align	6, 0x0
	.amdhsa_kernel _ZN9rocsparseL20gebsr2csr_nnz_kernelILi256ELi64EEEvii21rocsparse_index_base_PKiS3_iiS1_PiS4_
		.amdhsa_group_segment_fixed_size 0
		.amdhsa_private_segment_fixed_size 0
		.amdhsa_kernarg_size 320
		.amdhsa_user_sgpr_count 6
		.amdhsa_user_sgpr_private_segment_buffer 1
		.amdhsa_user_sgpr_dispatch_ptr 0
		.amdhsa_user_sgpr_queue_ptr 0
		.amdhsa_user_sgpr_kernarg_segment_ptr 1
		.amdhsa_user_sgpr_dispatch_id 0
		.amdhsa_user_sgpr_flat_scratch_init 0
		.amdhsa_user_sgpr_private_segment_size 0
		.amdhsa_uses_dynamic_stack 0
		.amdhsa_system_sgpr_private_segment_wavefront_offset 0
		.amdhsa_system_sgpr_workgroup_id_x 1
		.amdhsa_system_sgpr_workgroup_id_y 0
		.amdhsa_system_sgpr_workgroup_id_z 0
		.amdhsa_system_sgpr_workgroup_info 0
		.amdhsa_system_vgpr_workitem_id 0
		.amdhsa_next_free_vgpr 11
		.amdhsa_next_free_sgpr 13
		.amdhsa_reserve_vcc 1
		.amdhsa_reserve_flat_scratch 0
		.amdhsa_float_round_mode_32 0
		.amdhsa_float_round_mode_16_64 0
		.amdhsa_float_denorm_mode_32 3
		.amdhsa_float_denorm_mode_16_64 3
		.amdhsa_dx10_clamp 1
		.amdhsa_ieee_mode 1
		.amdhsa_fp16_overflow 0
		.amdhsa_exception_fp_ieee_invalid_op 0
		.amdhsa_exception_fp_denorm_src 0
		.amdhsa_exception_fp_ieee_div_zero 0
		.amdhsa_exception_fp_ieee_overflow 0
		.amdhsa_exception_fp_ieee_underflow 0
		.amdhsa_exception_fp_ieee_inexact 0
		.amdhsa_exception_int_div_zero 0
	.end_amdhsa_kernel
	.section	.text._ZN9rocsparseL20gebsr2csr_nnz_kernelILi256ELi64EEEvii21rocsparse_index_base_PKiS3_iiS1_PiS4_,"axG",@progbits,_ZN9rocsparseL20gebsr2csr_nnz_kernelILi256ELi64EEEvii21rocsparse_index_base_PKiS3_iiS1_PiS4_,comdat
.Lfunc_end1:
	.size	_ZN9rocsparseL20gebsr2csr_nnz_kernelILi256ELi64EEEvii21rocsparse_index_base_PKiS3_iiS1_PiS4_, .Lfunc_end1-_ZN9rocsparseL20gebsr2csr_nnz_kernelILi256ELi64EEEvii21rocsparse_index_base_PKiS3_iiS1_PiS4_
                                        ; -- End function
	.set _ZN9rocsparseL20gebsr2csr_nnz_kernelILi256ELi64EEEvii21rocsparse_index_base_PKiS3_iiS1_PiS4_.num_vgpr, 11
	.set _ZN9rocsparseL20gebsr2csr_nnz_kernelILi256ELi64EEEvii21rocsparse_index_base_PKiS3_iiS1_PiS4_.num_agpr, 0
	.set _ZN9rocsparseL20gebsr2csr_nnz_kernelILi256ELi64EEEvii21rocsparse_index_base_PKiS3_iiS1_PiS4_.numbered_sgpr, 13
	.set _ZN9rocsparseL20gebsr2csr_nnz_kernelILi256ELi64EEEvii21rocsparse_index_base_PKiS3_iiS1_PiS4_.num_named_barrier, 0
	.set _ZN9rocsparseL20gebsr2csr_nnz_kernelILi256ELi64EEEvii21rocsparse_index_base_PKiS3_iiS1_PiS4_.private_seg_size, 0
	.set _ZN9rocsparseL20gebsr2csr_nnz_kernelILi256ELi64EEEvii21rocsparse_index_base_PKiS3_iiS1_PiS4_.uses_vcc, 1
	.set _ZN9rocsparseL20gebsr2csr_nnz_kernelILi256ELi64EEEvii21rocsparse_index_base_PKiS3_iiS1_PiS4_.uses_flat_scratch, 0
	.set _ZN9rocsparseL20gebsr2csr_nnz_kernelILi256ELi64EEEvii21rocsparse_index_base_PKiS3_iiS1_PiS4_.has_dyn_sized_stack, 0
	.set _ZN9rocsparseL20gebsr2csr_nnz_kernelILi256ELi64EEEvii21rocsparse_index_base_PKiS3_iiS1_PiS4_.has_recursion, 0
	.set _ZN9rocsparseL20gebsr2csr_nnz_kernelILi256ELi64EEEvii21rocsparse_index_base_PKiS3_iiS1_PiS4_.has_indirect_call, 0
	.section	.AMDGPU.csdata,"",@progbits
; Kernel info:
; codeLenInByte = 664
; TotalNumSgprs: 17
; NumVgprs: 11
; ScratchSize: 0
; MemoryBound: 0
; FloatMode: 240
; IeeeMode: 1
; LDSByteSize: 0 bytes/workgroup (compile time only)
; SGPRBlocks: 2
; VGPRBlocks: 2
; NumSGPRsForWavesPerEU: 17
; NumVGPRsForWavesPerEU: 11
; Occupancy: 10
; WaveLimiterHint : 0
; COMPUTE_PGM_RSRC2:SCRATCH_EN: 0
; COMPUTE_PGM_RSRC2:USER_SGPR: 6
; COMPUTE_PGM_RSRC2:TRAP_HANDLER: 0
; COMPUTE_PGM_RSRC2:TGID_X_EN: 1
; COMPUTE_PGM_RSRC2:TGID_Y_EN: 0
; COMPUTE_PGM_RSRC2:TGID_Z_EN: 0
; COMPUTE_PGM_RSRC2:TIDIG_COMP_CNT: 0
	.section	.text._ZN9rocsparseL27gebsr2gebsr_nnz_fast_kernelILi16ELi2EEEvii21rocsparse_index_base_PKiS3_iiiiS1_Piii,"axG",@progbits,_ZN9rocsparseL27gebsr2gebsr_nnz_fast_kernelILi16ELi2EEEvii21rocsparse_index_base_PKiS3_iiiiS1_Piii,comdat
	.globl	_ZN9rocsparseL27gebsr2gebsr_nnz_fast_kernelILi16ELi2EEEvii21rocsparse_index_base_PKiS3_iiiiS1_Piii ; -- Begin function _ZN9rocsparseL27gebsr2gebsr_nnz_fast_kernelILi16ELi2EEEvii21rocsparse_index_base_PKiS3_iiiiS1_Piii
	.p2align	8
	.type	_ZN9rocsparseL27gebsr2gebsr_nnz_fast_kernelILi16ELi2EEEvii21rocsparse_index_base_PKiS3_iiiiS1_Piii,@function
_ZN9rocsparseL27gebsr2gebsr_nnz_fast_kernelILi16ELi2EEEvii21rocsparse_index_base_PKiS3_iiiiS1_Piii: ; @_ZN9rocsparseL27gebsr2gebsr_nnz_fast_kernelILi16ELi2EEEvii21rocsparse_index_base_PKiS3_iiiiS1_Piii
; %bb.0:
	s_load_dwordx4 s[8:11], s[4:5], 0x20
	s_load_dword s24, s[4:5], 0x30
	s_load_dwordx2 s[2:3], s[4:5], 0x40
	v_lshrrev_b32_e32 v2, 1, v0
	s_waitcnt lgkmcnt(0)
	s_abs_i32 s7, s8
	v_cvt_f32_u32_e32 v1, s7
	s_sub_i32 s0, 0, s7
	v_rcp_iflag_f32_e32 v1, v1
	v_mul_f32_e32 v1, 0x4f7ffffe, v1
	v_cvt_u32_f32_e32 v4, v1
	v_and_b32_e32 v1, 1, v0
	v_lshl_or_b32 v0, s6, 3, v2
	s_load_dword s6, s[4:5], 0x0
	s_load_dword s25, s[4:5], 0x8
	v_mul_lo_u32 v5, s0, v4
	v_mad_u64_u32 v[2:3], s[0:1], v0, s2, v[1:2]
	v_cmp_gt_i32_e32 vcc, s2, v1
	v_mul_hi_u32 v3, v4, v5
	v_sub_u32_e32 v5, 0, v2
	v_max_i32_e32 v5, v2, v5
	v_xor_b32_e32 v2, s8, v2
	v_add_u32_e32 v3, v4, v3
	v_mul_hi_u32 v3, v5, v3
	v_ashrrev_i32_e32 v2, 31, v2
	v_mov_b32_e32 v4, 0
	v_mul_lo_u32 v6, v3, s7
	v_add_u32_e32 v7, 1, v3
	v_sub_u32_e32 v5, v5, v6
	v_cmp_le_u32_e64 s[0:1], s7, v5
	v_subrev_u32_e32 v6, s7, v5
	v_cndmask_b32_e64 v3, v3, v7, s[0:1]
	v_cndmask_b32_e64 v5, v5, v6, s[0:1]
	v_add_u32_e32 v6, 1, v3
	v_cmp_le_u32_e64 s[0:1], s7, v5
	v_cndmask_b32_e64 v3, v3, v6, s[0:1]
	v_xor_b32_e32 v3, v3, v2
	v_sub_u32_e32 v2, v3, v2
	s_waitcnt lgkmcnt(0)
	v_cmp_gt_i32_e64 s[0:1], s6, v2
	s_and_b64 s[6:7], vcc, s[0:1]
	v_mov_b32_e32 v5, 0
	s_and_saveexec_b64 s[0:1], s[6:7]
	s_cbranch_execz .LBB2_2
; %bb.1:
	s_load_dwordx2 s[6:7], s[4:5], 0x10
	v_ashrrev_i32_e32 v3, 31, v2
	v_lshlrev_b64 v[2:3], 2, v[2:3]
	s_waitcnt lgkmcnt(0)
	v_mov_b32_e32 v4, s7
	v_add_co_u32_e32 v2, vcc, s6, v2
	v_addc_co_u32_e32 v3, vcc, v4, v3, vcc
	global_load_dwordx2 v[2:3], v[2:3], off
	s_waitcnt vmcnt(0)
	v_subrev_u32_e32 v5, s25, v2
	v_subrev_u32_e32 v4, s25, v3
.LBB2_2:
	s_or_b64 exec, exec, s[0:1]
	s_load_dwordx2 s[6:7], s[4:5], 0x38
	s_cmp_lt_i32 s11, 1
	v_cmp_ne_u32_e64 s[0:1], 0, v1
	s_cbranch_scc1 .LBB2_15
; %bb.3:
	s_cmp_gt_i32 s9, 0
	s_cselect_b64 s[14:15], -1, 0
	s_abs_i32 s8, s3
	v_cvt_f32_u32_e32 v2, s8
	s_sub_i32 s2, 0, s8
	s_load_dwordx2 s[4:5], s[4:5], 0x18
	v_mbcnt_lo_u32_b32 v3, -1, 0
	v_rcp_iflag_f32_e32 v2, v2
	v_mbcnt_hi_u32_b32 v3, -1, v3
	v_cndmask_b32_e64 v9, 0, 1, s[14:15]
	v_mov_b32_e32 v6, 0
	v_mul_f32_e32 v2, 0x4f7ffffe, v2
	v_cvt_u32_f32_e32 v2, v2
	s_mov_b64 s[12:13], 0
	s_ashr_i32 s26, s3, 31
	v_mul_lo_u32 v7, s2, v2
	v_cmp_ne_u32_e64 s[2:3], 1, v9
	v_mov_b32_e32 v9, 0
	v_mul_hi_u32 v8, v2, v7
	v_lshl_or_b32 v7, v3, 2, 4
	v_add_u32_e32 v8, v2, v8
	s_branch .LBB2_6
.LBB2_4:                                ;   in Loop: Header=BB2_6 Depth=1
	s_or_b64 exec, exec, s[16:17]
.LBB2_5:                                ;   in Loop: Header=BB2_6 Depth=1
	s_or_b64 exec, exec, s[14:15]
	v_mov_b32_dpp v2, v10 row_shr:1 row_mask:0xf bank_mask:0xf
	v_min_i32_e32 v2, v2, v10
	ds_bpermute_b32 v2, v7, v2
	s_waitcnt lgkmcnt(0)
	v_cmp_gt_i32_e32 vcc, s11, v2
	v_add_u32_e32 v9, 1, v2
	s_and_b64 s[14:15], s[0:1], vcc
	v_cndmask_b32_e64 v2, 0, 1, s[14:15]
	v_cmp_le_i32_e32 vcc, s11, v9
	s_or_b64 s[12:13], vcc, s[12:13]
	v_add_u32_e32 v6, v6, v2
	s_andn2_b64 exec, exec, s[12:13]
	s_cbranch_execz .LBB2_14
.LBB2_6:                                ; =>This Loop Header: Depth=1
                                        ;     Child Loop BB2_10 Depth 2
                                        ;       Child Loop BB2_12 Depth 3
	v_cmp_lt_i32_e32 vcc, v5, v4
	v_mov_b32_e32 v10, s11
	s_and_saveexec_b64 s[14:15], vcc
	s_cbranch_execz .LBB2_5
; %bb.7:                                ;   in Loop: Header=BB2_6 Depth=1
	s_mov_b64 s[16:17], 0
	v_mov_b32_e32 v10, s11
	v_mov_b32_e32 v2, v5
	s_branch .LBB2_10
.LBB2_8:                                ;   in Loop: Header=BB2_10 Depth=2
	s_mov_b64 s[18:19], 0
.LBB2_9:                                ;   in Loop: Header=BB2_10 Depth=2
	v_add_u32_e32 v2, 1, v2
	v_cmp_ge_i32_e32 vcc, v2, v4
	s_or_b64 s[18:19], s[18:19], vcc
	s_and_b64 s[18:19], exec, s[18:19]
	s_or_b64 s[16:17], s[18:19], s[16:17]
	s_andn2_b64 exec, exec, s[16:17]
	s_cbranch_execz .LBB2_4
.LBB2_10:                               ;   Parent Loop BB2_6 Depth=1
                                        ; =>  This Loop Header: Depth=2
                                        ;       Child Loop BB2_12 Depth 3
	s_and_b64 vcc, exec, s[2:3]
	s_cbranch_vccnz .LBB2_8
; %bb.11:                               ;   in Loop: Header=BB2_10 Depth=2
	v_ashrrev_i32_e32 v3, 31, v2
	v_lshlrev_b64 v[11:12], 2, v[2:3]
	s_waitcnt lgkmcnt(0)
	v_mov_b32_e32 v3, s5
	v_add_co_u32_e32 v11, vcc, s4, v11
	v_addc_co_u32_e32 v12, vcc, v3, v12, vcc
	global_load_dword v3, v[11:12], off
	s_mov_b64 s[20:21], 0
	s_mov_b32 s27, 0
	s_mov_b64 s[22:23], 0
                                        ; implicit-def: $sgpr18_sgpr19
	s_waitcnt vmcnt(0)
	v_subrev_u32_e32 v3, s25, v3
	v_mul_lo_u32 v3, v3, s9
.LBB2_12:                               ;   Parent Loop BB2_6 Depth=1
                                        ;     Parent Loop BB2_10 Depth=2
                                        ; =>    This Inner Loop Header: Depth=3
	v_add_u32_e32 v11, s27, v3
	v_sub_u32_e32 v13, 0, v11
	v_ashrrev_i32_e32 v12, 31, v11
	v_max_i32_e32 v11, v11, v13
	v_mul_hi_u32 v13, v11, v8
	v_xor_b32_e32 v12, s26, v12
	s_add_i32 s27, s27, 1
	v_mul_lo_u32 v14, v13, s8
	v_add_u32_e32 v15, 1, v13
	v_sub_u32_e32 v11, v11, v14
	v_cmp_le_u32_e32 vcc, s8, v11
	v_subrev_u32_e32 v14, s8, v11
	v_cndmask_b32_e32 v13, v13, v15, vcc
	v_cndmask_b32_e32 v11, v11, v14, vcc
	v_add_u32_e32 v14, 1, v13
	v_cmp_le_u32_e32 vcc, s8, v11
	v_cndmask_b32_e32 v11, v13, v14, vcc
	v_xor_b32_e32 v11, v11, v12
	v_sub_u32_e32 v11, v11, v12
	v_cmp_ge_i32_e32 vcc, v11, v9
	s_or_b64 s[20:21], vcc, s[20:21]
	s_cmp_ge_i32 s27, s9
	s_cselect_b64 s[28:29], -1, 0
	s_or_b64 s[28:29], vcc, s[28:29]
	s_and_b64 s[28:29], exec, s[28:29]
	s_or_b64 s[22:23], s[28:29], s[22:23]
	s_andn2_b64 s[18:19], s[18:19], exec
	s_and_b64 s[28:29], s[20:21], exec
	v_cndmask_b32_e32 v10, v10, v11, vcc
	v_cndmask_b32_e32 v5, v5, v2, vcc
	s_or_b64 s[18:19], s[18:19], s[28:29]
	s_andn2_b64 exec, exec, s[22:23]
	s_cbranch_execnz .LBB2_12
; %bb.13:                               ;   in Loop: Header=BB2_10 Depth=2
	s_or_b64 exec, exec, s[22:23]
	s_branch .LBB2_9
.LBB2_14:
	s_or_b64 exec, exec, s[12:13]
	s_branch .LBB2_16
.LBB2_15:
	v_mov_b32_e32 v6, 0
.LBB2_16:
	v_cmp_gt_i32_e32 vcc, s10, v0
	v_cmp_ne_u32_e64 s[0:1], 0, v1
	s_and_b64 s[0:1], s[0:1], vcc
	s_and_saveexec_b64 s[2:3], s[0:1]
	s_cbranch_execz .LBB2_18
; %bb.17:
	v_ashrrev_i32_e32 v1, 31, v0
	v_lshlrev_b64 v[0:1], 2, v[0:1]
	s_waitcnt lgkmcnt(0)
	v_mov_b32_e32 v2, s7
	v_add_co_u32_e32 v0, vcc, s6, v0
	v_addc_co_u32_e32 v1, vcc, v2, v1, vcc
	v_mov_b32_e32 v2, 0
	v_mov_b32_e32 v3, s24
	global_store_dword v2, v3, s[6:7]
	global_store_dword v[0:1], v6, off offset:4
.LBB2_18:
	s_endpgm
	.section	.rodata,"a",@progbits
	.p2align	6, 0x0
	.amdhsa_kernel _ZN9rocsparseL27gebsr2gebsr_nnz_fast_kernelILi16ELi2EEEvii21rocsparse_index_base_PKiS3_iiiiS1_Piii
		.amdhsa_group_segment_fixed_size 0
		.amdhsa_private_segment_fixed_size 0
		.amdhsa_kernarg_size 72
		.amdhsa_user_sgpr_count 6
		.amdhsa_user_sgpr_private_segment_buffer 1
		.amdhsa_user_sgpr_dispatch_ptr 0
		.amdhsa_user_sgpr_queue_ptr 0
		.amdhsa_user_sgpr_kernarg_segment_ptr 1
		.amdhsa_user_sgpr_dispatch_id 0
		.amdhsa_user_sgpr_flat_scratch_init 0
		.amdhsa_user_sgpr_private_segment_size 0
		.amdhsa_uses_dynamic_stack 0
		.amdhsa_system_sgpr_private_segment_wavefront_offset 0
		.amdhsa_system_sgpr_workgroup_id_x 1
		.amdhsa_system_sgpr_workgroup_id_y 0
		.amdhsa_system_sgpr_workgroup_id_z 0
		.amdhsa_system_sgpr_workgroup_info 0
		.amdhsa_system_vgpr_workitem_id 0
		.amdhsa_next_free_vgpr 16
		.amdhsa_next_free_sgpr 30
		.amdhsa_reserve_vcc 1
		.amdhsa_reserve_flat_scratch 0
		.amdhsa_float_round_mode_32 0
		.amdhsa_float_round_mode_16_64 0
		.amdhsa_float_denorm_mode_32 3
		.amdhsa_float_denorm_mode_16_64 3
		.amdhsa_dx10_clamp 1
		.amdhsa_ieee_mode 1
		.amdhsa_fp16_overflow 0
		.amdhsa_exception_fp_ieee_invalid_op 0
		.amdhsa_exception_fp_denorm_src 0
		.amdhsa_exception_fp_ieee_div_zero 0
		.amdhsa_exception_fp_ieee_overflow 0
		.amdhsa_exception_fp_ieee_underflow 0
		.amdhsa_exception_fp_ieee_inexact 0
		.amdhsa_exception_int_div_zero 0
	.end_amdhsa_kernel
	.section	.text._ZN9rocsparseL27gebsr2gebsr_nnz_fast_kernelILi16ELi2EEEvii21rocsparse_index_base_PKiS3_iiiiS1_Piii,"axG",@progbits,_ZN9rocsparseL27gebsr2gebsr_nnz_fast_kernelILi16ELi2EEEvii21rocsparse_index_base_PKiS3_iiiiS1_Piii,comdat
.Lfunc_end2:
	.size	_ZN9rocsparseL27gebsr2gebsr_nnz_fast_kernelILi16ELi2EEEvii21rocsparse_index_base_PKiS3_iiiiS1_Piii, .Lfunc_end2-_ZN9rocsparseL27gebsr2gebsr_nnz_fast_kernelILi16ELi2EEEvii21rocsparse_index_base_PKiS3_iiiiS1_Piii
                                        ; -- End function
	.set _ZN9rocsparseL27gebsr2gebsr_nnz_fast_kernelILi16ELi2EEEvii21rocsparse_index_base_PKiS3_iiiiS1_Piii.num_vgpr, 16
	.set _ZN9rocsparseL27gebsr2gebsr_nnz_fast_kernelILi16ELi2EEEvii21rocsparse_index_base_PKiS3_iiiiS1_Piii.num_agpr, 0
	.set _ZN9rocsparseL27gebsr2gebsr_nnz_fast_kernelILi16ELi2EEEvii21rocsparse_index_base_PKiS3_iiiiS1_Piii.numbered_sgpr, 30
	.set _ZN9rocsparseL27gebsr2gebsr_nnz_fast_kernelILi16ELi2EEEvii21rocsparse_index_base_PKiS3_iiiiS1_Piii.num_named_barrier, 0
	.set _ZN9rocsparseL27gebsr2gebsr_nnz_fast_kernelILi16ELi2EEEvii21rocsparse_index_base_PKiS3_iiiiS1_Piii.private_seg_size, 0
	.set _ZN9rocsparseL27gebsr2gebsr_nnz_fast_kernelILi16ELi2EEEvii21rocsparse_index_base_PKiS3_iiiiS1_Piii.uses_vcc, 1
	.set _ZN9rocsparseL27gebsr2gebsr_nnz_fast_kernelILi16ELi2EEEvii21rocsparse_index_base_PKiS3_iiiiS1_Piii.uses_flat_scratch, 0
	.set _ZN9rocsparseL27gebsr2gebsr_nnz_fast_kernelILi16ELi2EEEvii21rocsparse_index_base_PKiS3_iiiiS1_Piii.has_dyn_sized_stack, 0
	.set _ZN9rocsparseL27gebsr2gebsr_nnz_fast_kernelILi16ELi2EEEvii21rocsparse_index_base_PKiS3_iiiiS1_Piii.has_recursion, 0
	.set _ZN9rocsparseL27gebsr2gebsr_nnz_fast_kernelILi16ELi2EEEvii21rocsparse_index_base_PKiS3_iiiiS1_Piii.has_indirect_call, 0
	.section	.AMDGPU.csdata,"",@progbits
; Kernel info:
; codeLenInByte = 904
; TotalNumSgprs: 34
; NumVgprs: 16
; ScratchSize: 0
; MemoryBound: 0
; FloatMode: 240
; IeeeMode: 1
; LDSByteSize: 0 bytes/workgroup (compile time only)
; SGPRBlocks: 4
; VGPRBlocks: 3
; NumSGPRsForWavesPerEU: 34
; NumVGPRsForWavesPerEU: 16
; Occupancy: 10
; WaveLimiterHint : 0
; COMPUTE_PGM_RSRC2:SCRATCH_EN: 0
; COMPUTE_PGM_RSRC2:USER_SGPR: 6
; COMPUTE_PGM_RSRC2:TRAP_HANDLER: 0
; COMPUTE_PGM_RSRC2:TGID_X_EN: 1
; COMPUTE_PGM_RSRC2:TGID_Y_EN: 0
; COMPUTE_PGM_RSRC2:TGID_Z_EN: 0
; COMPUTE_PGM_RSRC2:TIDIG_COMP_CNT: 0
	.section	.text._ZN9rocsparseL27gebsr2gebsr_nnz_fast_kernelILi16ELi4EEEvii21rocsparse_index_base_PKiS3_iiiiS1_Piii,"axG",@progbits,_ZN9rocsparseL27gebsr2gebsr_nnz_fast_kernelILi16ELi4EEEvii21rocsparse_index_base_PKiS3_iiiiS1_Piii,comdat
	.globl	_ZN9rocsparseL27gebsr2gebsr_nnz_fast_kernelILi16ELi4EEEvii21rocsparse_index_base_PKiS3_iiiiS1_Piii ; -- Begin function _ZN9rocsparseL27gebsr2gebsr_nnz_fast_kernelILi16ELi4EEEvii21rocsparse_index_base_PKiS3_iiiiS1_Piii
	.p2align	8
	.type	_ZN9rocsparseL27gebsr2gebsr_nnz_fast_kernelILi16ELi4EEEvii21rocsparse_index_base_PKiS3_iiiiS1_Piii,@function
_ZN9rocsparseL27gebsr2gebsr_nnz_fast_kernelILi16ELi4EEEvii21rocsparse_index_base_PKiS3_iiiiS1_Piii: ; @_ZN9rocsparseL27gebsr2gebsr_nnz_fast_kernelILi16ELi4EEEvii21rocsparse_index_base_PKiS3_iiiiS1_Piii
; %bb.0:
	s_load_dwordx4 s[8:11], s[4:5], 0x20
	s_load_dword s24, s[4:5], 0x30
	s_load_dwordx2 s[2:3], s[4:5], 0x40
	v_lshrrev_b32_e32 v2, 2, v0
	s_waitcnt lgkmcnt(0)
	s_abs_i32 s7, s8
	v_cvt_f32_u32_e32 v1, s7
	s_sub_i32 s0, 0, s7
	v_rcp_iflag_f32_e32 v1, v1
	v_mul_f32_e32 v1, 0x4f7ffffe, v1
	v_cvt_u32_f32_e32 v4, v1
	v_and_b32_e32 v1, 3, v0
	v_lshl_or_b32 v0, s6, 2, v2
	s_load_dword s6, s[4:5], 0x0
	s_load_dword s25, s[4:5], 0x8
	v_mul_lo_u32 v5, s0, v4
	v_mad_u64_u32 v[2:3], s[0:1], v0, s2, v[1:2]
	v_cmp_gt_i32_e32 vcc, s2, v1
	v_mul_hi_u32 v3, v4, v5
	v_sub_u32_e32 v5, 0, v2
	v_max_i32_e32 v5, v2, v5
	v_xor_b32_e32 v2, s8, v2
	v_add_u32_e32 v3, v4, v3
	v_mul_hi_u32 v3, v5, v3
	v_ashrrev_i32_e32 v2, 31, v2
	v_mov_b32_e32 v4, 0
	v_mul_lo_u32 v6, v3, s7
	v_add_u32_e32 v7, 1, v3
	v_sub_u32_e32 v5, v5, v6
	v_cmp_le_u32_e64 s[0:1], s7, v5
	v_subrev_u32_e32 v6, s7, v5
	v_cndmask_b32_e64 v3, v3, v7, s[0:1]
	v_cndmask_b32_e64 v5, v5, v6, s[0:1]
	v_add_u32_e32 v6, 1, v3
	v_cmp_le_u32_e64 s[0:1], s7, v5
	v_cndmask_b32_e64 v3, v3, v6, s[0:1]
	v_xor_b32_e32 v3, v3, v2
	v_sub_u32_e32 v2, v3, v2
	s_waitcnt lgkmcnt(0)
	v_cmp_gt_i32_e64 s[0:1], s6, v2
	s_and_b64 s[6:7], vcc, s[0:1]
	v_mov_b32_e32 v5, 0
	s_and_saveexec_b64 s[0:1], s[6:7]
	s_cbranch_execz .LBB3_2
; %bb.1:
	s_load_dwordx2 s[6:7], s[4:5], 0x10
	v_ashrrev_i32_e32 v3, 31, v2
	v_lshlrev_b64 v[2:3], 2, v[2:3]
	s_waitcnt lgkmcnt(0)
	v_mov_b32_e32 v4, s7
	v_add_co_u32_e32 v2, vcc, s6, v2
	v_addc_co_u32_e32 v3, vcc, v4, v3, vcc
	global_load_dwordx2 v[2:3], v[2:3], off
	s_waitcnt vmcnt(0)
	v_subrev_u32_e32 v5, s25, v2
	v_subrev_u32_e32 v4, s25, v3
.LBB3_2:
	s_or_b64 exec, exec, s[0:1]
	s_load_dwordx2 s[6:7], s[4:5], 0x38
	s_cmp_lt_i32 s11, 1
	v_cmp_eq_u32_e64 s[0:1], 3, v1
	s_cbranch_scc1 .LBB3_15
; %bb.3:
	s_cmp_gt_i32 s9, 0
	s_cselect_b64 s[14:15], -1, 0
	s_abs_i32 s8, s3
	v_cvt_f32_u32_e32 v2, s8
	s_sub_i32 s2, 0, s8
	s_load_dwordx2 s[4:5], s[4:5], 0x18
	v_mbcnt_lo_u32_b32 v3, -1, 0
	v_rcp_iflag_f32_e32 v2, v2
	v_mbcnt_hi_u32_b32 v3, -1, v3
	v_cndmask_b32_e64 v9, 0, 1, s[14:15]
	v_mov_b32_e32 v6, 0
	v_mul_f32_e32 v2, 0x4f7ffffe, v2
	v_cvt_u32_f32_e32 v2, v2
	s_mov_b64 s[12:13], 0
	s_ashr_i32 s26, s3, 31
	v_mul_lo_u32 v7, s2, v2
	v_cmp_ne_u32_e64 s[2:3], 1, v9
	v_mov_b32_e32 v9, 0
	v_mul_hi_u32 v8, v2, v7
	v_lshl_or_b32 v7, v3, 2, 12
	v_add_u32_e32 v8, v2, v8
	s_branch .LBB3_6
.LBB3_4:                                ;   in Loop: Header=BB3_6 Depth=1
	s_or_b64 exec, exec, s[16:17]
.LBB3_5:                                ;   in Loop: Header=BB3_6 Depth=1
	s_or_b64 exec, exec, s[14:15]
	v_mov_b32_dpp v2, v10 row_shr:1 row_mask:0xf bank_mask:0xf
	v_min_i32_e32 v2, v2, v10
	s_nop 1
	v_mov_b32_dpp v3, v2 row_shr:2 row_mask:0xf bank_mask:0xf
	v_min_i32_e32 v2, v3, v2
	ds_bpermute_b32 v2, v7, v2
	s_waitcnt lgkmcnt(0)
	v_cmp_gt_i32_e32 vcc, s11, v2
	v_add_u32_e32 v9, 1, v2
	s_and_b64 s[14:15], s[0:1], vcc
	v_cndmask_b32_e64 v2, 0, 1, s[14:15]
	v_cmp_le_i32_e32 vcc, s11, v9
	s_or_b64 s[12:13], vcc, s[12:13]
	v_add_u32_e32 v6, v6, v2
	s_andn2_b64 exec, exec, s[12:13]
	s_cbranch_execz .LBB3_14
.LBB3_6:                                ; =>This Loop Header: Depth=1
                                        ;     Child Loop BB3_10 Depth 2
                                        ;       Child Loop BB3_12 Depth 3
	v_cmp_lt_i32_e32 vcc, v5, v4
	v_mov_b32_e32 v10, s11
	s_and_saveexec_b64 s[14:15], vcc
	s_cbranch_execz .LBB3_5
; %bb.7:                                ;   in Loop: Header=BB3_6 Depth=1
	s_mov_b64 s[16:17], 0
	v_mov_b32_e32 v10, s11
	v_mov_b32_e32 v2, v5
	s_branch .LBB3_10
.LBB3_8:                                ;   in Loop: Header=BB3_10 Depth=2
	s_mov_b64 s[18:19], 0
.LBB3_9:                                ;   in Loop: Header=BB3_10 Depth=2
	v_add_u32_e32 v2, 1, v2
	v_cmp_ge_i32_e32 vcc, v2, v4
	s_or_b64 s[18:19], s[18:19], vcc
	s_and_b64 s[18:19], exec, s[18:19]
	s_or_b64 s[16:17], s[18:19], s[16:17]
	s_andn2_b64 exec, exec, s[16:17]
	s_cbranch_execz .LBB3_4
.LBB3_10:                               ;   Parent Loop BB3_6 Depth=1
                                        ; =>  This Loop Header: Depth=2
                                        ;       Child Loop BB3_12 Depth 3
	s_and_b64 vcc, exec, s[2:3]
	s_cbranch_vccnz .LBB3_8
; %bb.11:                               ;   in Loop: Header=BB3_10 Depth=2
	v_ashrrev_i32_e32 v3, 31, v2
	v_lshlrev_b64 v[11:12], 2, v[2:3]
	s_waitcnt lgkmcnt(0)
	v_mov_b32_e32 v3, s5
	v_add_co_u32_e32 v11, vcc, s4, v11
	v_addc_co_u32_e32 v12, vcc, v3, v12, vcc
	global_load_dword v3, v[11:12], off
	s_mov_b64 s[20:21], 0
	s_mov_b32 s27, 0
	s_mov_b64 s[22:23], 0
                                        ; implicit-def: $sgpr18_sgpr19
	s_waitcnt vmcnt(0)
	v_subrev_u32_e32 v3, s25, v3
	v_mul_lo_u32 v3, v3, s9
.LBB3_12:                               ;   Parent Loop BB3_6 Depth=1
                                        ;     Parent Loop BB3_10 Depth=2
                                        ; =>    This Inner Loop Header: Depth=3
	v_add_u32_e32 v11, s27, v3
	v_sub_u32_e32 v13, 0, v11
	v_ashrrev_i32_e32 v12, 31, v11
	v_max_i32_e32 v11, v11, v13
	v_mul_hi_u32 v13, v11, v8
	v_xor_b32_e32 v12, s26, v12
	s_add_i32 s27, s27, 1
	v_mul_lo_u32 v14, v13, s8
	v_add_u32_e32 v15, 1, v13
	v_sub_u32_e32 v11, v11, v14
	v_cmp_le_u32_e32 vcc, s8, v11
	v_subrev_u32_e32 v14, s8, v11
	v_cndmask_b32_e32 v13, v13, v15, vcc
	v_cndmask_b32_e32 v11, v11, v14, vcc
	v_add_u32_e32 v14, 1, v13
	v_cmp_le_u32_e32 vcc, s8, v11
	v_cndmask_b32_e32 v11, v13, v14, vcc
	v_xor_b32_e32 v11, v11, v12
	v_sub_u32_e32 v11, v11, v12
	v_cmp_ge_i32_e32 vcc, v11, v9
	s_or_b64 s[20:21], vcc, s[20:21]
	s_cmp_ge_i32 s27, s9
	s_cselect_b64 s[28:29], -1, 0
	s_or_b64 s[28:29], vcc, s[28:29]
	s_and_b64 s[28:29], exec, s[28:29]
	s_or_b64 s[22:23], s[28:29], s[22:23]
	s_andn2_b64 s[18:19], s[18:19], exec
	s_and_b64 s[28:29], s[20:21], exec
	v_cndmask_b32_e32 v10, v10, v11, vcc
	v_cndmask_b32_e32 v5, v5, v2, vcc
	s_or_b64 s[18:19], s[18:19], s[28:29]
	s_andn2_b64 exec, exec, s[22:23]
	s_cbranch_execnz .LBB3_12
; %bb.13:                               ;   in Loop: Header=BB3_10 Depth=2
	s_or_b64 exec, exec, s[22:23]
	s_branch .LBB3_9
.LBB3_14:
	s_or_b64 exec, exec, s[12:13]
	s_branch .LBB3_16
.LBB3_15:
	v_mov_b32_e32 v6, 0
.LBB3_16:
	v_cmp_gt_i32_e32 vcc, s10, v0
	v_cmp_eq_u32_e64 s[0:1], 3, v1
	s_and_b64 s[0:1], s[0:1], vcc
	s_and_saveexec_b64 s[2:3], s[0:1]
	s_cbranch_execz .LBB3_18
; %bb.17:
	v_ashrrev_i32_e32 v1, 31, v0
	v_lshlrev_b64 v[0:1], 2, v[0:1]
	s_waitcnt lgkmcnt(0)
	v_mov_b32_e32 v2, s7
	v_add_co_u32_e32 v0, vcc, s6, v0
	v_addc_co_u32_e32 v1, vcc, v2, v1, vcc
	v_mov_b32_e32 v2, 0
	v_mov_b32_e32 v3, s24
	global_store_dword v2, v3, s[6:7]
	global_store_dword v[0:1], v6, off offset:4
.LBB3_18:
	s_endpgm
	.section	.rodata,"a",@progbits
	.p2align	6, 0x0
	.amdhsa_kernel _ZN9rocsparseL27gebsr2gebsr_nnz_fast_kernelILi16ELi4EEEvii21rocsparse_index_base_PKiS3_iiiiS1_Piii
		.amdhsa_group_segment_fixed_size 0
		.amdhsa_private_segment_fixed_size 0
		.amdhsa_kernarg_size 72
		.amdhsa_user_sgpr_count 6
		.amdhsa_user_sgpr_private_segment_buffer 1
		.amdhsa_user_sgpr_dispatch_ptr 0
		.amdhsa_user_sgpr_queue_ptr 0
		.amdhsa_user_sgpr_kernarg_segment_ptr 1
		.amdhsa_user_sgpr_dispatch_id 0
		.amdhsa_user_sgpr_flat_scratch_init 0
		.amdhsa_user_sgpr_private_segment_size 0
		.amdhsa_uses_dynamic_stack 0
		.amdhsa_system_sgpr_private_segment_wavefront_offset 0
		.amdhsa_system_sgpr_workgroup_id_x 1
		.amdhsa_system_sgpr_workgroup_id_y 0
		.amdhsa_system_sgpr_workgroup_id_z 0
		.amdhsa_system_sgpr_workgroup_info 0
		.amdhsa_system_vgpr_workitem_id 0
		.amdhsa_next_free_vgpr 16
		.amdhsa_next_free_sgpr 30
		.amdhsa_reserve_vcc 1
		.amdhsa_reserve_flat_scratch 0
		.amdhsa_float_round_mode_32 0
		.amdhsa_float_round_mode_16_64 0
		.amdhsa_float_denorm_mode_32 3
		.amdhsa_float_denorm_mode_16_64 3
		.amdhsa_dx10_clamp 1
		.amdhsa_ieee_mode 1
		.amdhsa_fp16_overflow 0
		.amdhsa_exception_fp_ieee_invalid_op 0
		.amdhsa_exception_fp_denorm_src 0
		.amdhsa_exception_fp_ieee_div_zero 0
		.amdhsa_exception_fp_ieee_overflow 0
		.amdhsa_exception_fp_ieee_underflow 0
		.amdhsa_exception_fp_ieee_inexact 0
		.amdhsa_exception_int_div_zero 0
	.end_amdhsa_kernel
	.section	.text._ZN9rocsparseL27gebsr2gebsr_nnz_fast_kernelILi16ELi4EEEvii21rocsparse_index_base_PKiS3_iiiiS1_Piii,"axG",@progbits,_ZN9rocsparseL27gebsr2gebsr_nnz_fast_kernelILi16ELi4EEEvii21rocsparse_index_base_PKiS3_iiiiS1_Piii,comdat
.Lfunc_end3:
	.size	_ZN9rocsparseL27gebsr2gebsr_nnz_fast_kernelILi16ELi4EEEvii21rocsparse_index_base_PKiS3_iiiiS1_Piii, .Lfunc_end3-_ZN9rocsparseL27gebsr2gebsr_nnz_fast_kernelILi16ELi4EEEvii21rocsparse_index_base_PKiS3_iiiiS1_Piii
                                        ; -- End function
	.set _ZN9rocsparseL27gebsr2gebsr_nnz_fast_kernelILi16ELi4EEEvii21rocsparse_index_base_PKiS3_iiiiS1_Piii.num_vgpr, 16
	.set _ZN9rocsparseL27gebsr2gebsr_nnz_fast_kernelILi16ELi4EEEvii21rocsparse_index_base_PKiS3_iiiiS1_Piii.num_agpr, 0
	.set _ZN9rocsparseL27gebsr2gebsr_nnz_fast_kernelILi16ELi4EEEvii21rocsparse_index_base_PKiS3_iiiiS1_Piii.numbered_sgpr, 30
	.set _ZN9rocsparseL27gebsr2gebsr_nnz_fast_kernelILi16ELi4EEEvii21rocsparse_index_base_PKiS3_iiiiS1_Piii.num_named_barrier, 0
	.set _ZN9rocsparseL27gebsr2gebsr_nnz_fast_kernelILi16ELi4EEEvii21rocsparse_index_base_PKiS3_iiiiS1_Piii.private_seg_size, 0
	.set _ZN9rocsparseL27gebsr2gebsr_nnz_fast_kernelILi16ELi4EEEvii21rocsparse_index_base_PKiS3_iiiiS1_Piii.uses_vcc, 1
	.set _ZN9rocsparseL27gebsr2gebsr_nnz_fast_kernelILi16ELi4EEEvii21rocsparse_index_base_PKiS3_iiiiS1_Piii.uses_flat_scratch, 0
	.set _ZN9rocsparseL27gebsr2gebsr_nnz_fast_kernelILi16ELi4EEEvii21rocsparse_index_base_PKiS3_iiiiS1_Piii.has_dyn_sized_stack, 0
	.set _ZN9rocsparseL27gebsr2gebsr_nnz_fast_kernelILi16ELi4EEEvii21rocsparse_index_base_PKiS3_iiiiS1_Piii.has_recursion, 0
	.set _ZN9rocsparseL27gebsr2gebsr_nnz_fast_kernelILi16ELi4EEEvii21rocsparse_index_base_PKiS3_iiiiS1_Piii.has_indirect_call, 0
	.section	.AMDGPU.csdata,"",@progbits
; Kernel info:
; codeLenInByte = 920
; TotalNumSgprs: 34
; NumVgprs: 16
; ScratchSize: 0
; MemoryBound: 0
; FloatMode: 240
; IeeeMode: 1
; LDSByteSize: 0 bytes/workgroup (compile time only)
; SGPRBlocks: 4
; VGPRBlocks: 3
; NumSGPRsForWavesPerEU: 34
; NumVGPRsForWavesPerEU: 16
; Occupancy: 10
; WaveLimiterHint : 0
; COMPUTE_PGM_RSRC2:SCRATCH_EN: 0
; COMPUTE_PGM_RSRC2:USER_SGPR: 6
; COMPUTE_PGM_RSRC2:TRAP_HANDLER: 0
; COMPUTE_PGM_RSRC2:TGID_X_EN: 1
; COMPUTE_PGM_RSRC2:TGID_Y_EN: 0
; COMPUTE_PGM_RSRC2:TGID_Z_EN: 0
; COMPUTE_PGM_RSRC2:TIDIG_COMP_CNT: 0
	.section	.text._ZN9rocsparseL27gebsr2gebsr_nnz_fast_kernelILi16ELi8EEEvii21rocsparse_index_base_PKiS3_iiiiS1_Piii,"axG",@progbits,_ZN9rocsparseL27gebsr2gebsr_nnz_fast_kernelILi16ELi8EEEvii21rocsparse_index_base_PKiS3_iiiiS1_Piii,comdat
	.globl	_ZN9rocsparseL27gebsr2gebsr_nnz_fast_kernelILi16ELi8EEEvii21rocsparse_index_base_PKiS3_iiiiS1_Piii ; -- Begin function _ZN9rocsparseL27gebsr2gebsr_nnz_fast_kernelILi16ELi8EEEvii21rocsparse_index_base_PKiS3_iiiiS1_Piii
	.p2align	8
	.type	_ZN9rocsparseL27gebsr2gebsr_nnz_fast_kernelILi16ELi8EEEvii21rocsparse_index_base_PKiS3_iiiiS1_Piii,@function
_ZN9rocsparseL27gebsr2gebsr_nnz_fast_kernelILi16ELi8EEEvii21rocsparse_index_base_PKiS3_iiiiS1_Piii: ; @_ZN9rocsparseL27gebsr2gebsr_nnz_fast_kernelILi16ELi8EEEvii21rocsparse_index_base_PKiS3_iiiiS1_Piii
; %bb.0:
	s_load_dwordx4 s[8:11], s[4:5], 0x20
	s_load_dword s24, s[4:5], 0x30
	s_load_dwordx2 s[2:3], s[4:5], 0x40
	v_lshrrev_b32_e32 v2, 3, v0
	s_waitcnt lgkmcnt(0)
	s_abs_i32 s7, s8
	v_cvt_f32_u32_e32 v1, s7
	s_sub_i32 s0, 0, s7
	v_rcp_iflag_f32_e32 v1, v1
	v_mul_f32_e32 v1, 0x4f7ffffe, v1
	v_cvt_u32_f32_e32 v4, v1
	v_and_b32_e32 v1, 7, v0
	v_lshl_or_b32 v0, s6, 1, v2
	s_load_dword s6, s[4:5], 0x0
	s_load_dword s25, s[4:5], 0x8
	v_mul_lo_u32 v5, s0, v4
	v_mad_u64_u32 v[2:3], s[0:1], v0, s2, v[1:2]
	v_cmp_gt_i32_e32 vcc, s2, v1
	v_mul_hi_u32 v3, v4, v5
	v_sub_u32_e32 v5, 0, v2
	v_max_i32_e32 v5, v2, v5
	v_xor_b32_e32 v2, s8, v2
	v_add_u32_e32 v3, v4, v3
	v_mul_hi_u32 v3, v5, v3
	v_ashrrev_i32_e32 v2, 31, v2
	v_mov_b32_e32 v4, 0
	v_mul_lo_u32 v6, v3, s7
	v_add_u32_e32 v7, 1, v3
	v_sub_u32_e32 v5, v5, v6
	v_cmp_le_u32_e64 s[0:1], s7, v5
	v_subrev_u32_e32 v6, s7, v5
	v_cndmask_b32_e64 v3, v3, v7, s[0:1]
	v_cndmask_b32_e64 v5, v5, v6, s[0:1]
	v_add_u32_e32 v6, 1, v3
	v_cmp_le_u32_e64 s[0:1], s7, v5
	v_cndmask_b32_e64 v3, v3, v6, s[0:1]
	v_xor_b32_e32 v3, v3, v2
	v_sub_u32_e32 v2, v3, v2
	s_waitcnt lgkmcnt(0)
	v_cmp_gt_i32_e64 s[0:1], s6, v2
	s_and_b64 s[6:7], vcc, s[0:1]
	v_mov_b32_e32 v5, 0
	s_and_saveexec_b64 s[0:1], s[6:7]
	s_cbranch_execz .LBB4_2
; %bb.1:
	s_load_dwordx2 s[6:7], s[4:5], 0x10
	v_ashrrev_i32_e32 v3, 31, v2
	v_lshlrev_b64 v[2:3], 2, v[2:3]
	s_waitcnt lgkmcnt(0)
	v_mov_b32_e32 v4, s7
	v_add_co_u32_e32 v2, vcc, s6, v2
	v_addc_co_u32_e32 v3, vcc, v4, v3, vcc
	global_load_dwordx2 v[2:3], v[2:3], off
	s_waitcnt vmcnt(0)
	v_subrev_u32_e32 v5, s25, v2
	v_subrev_u32_e32 v4, s25, v3
.LBB4_2:
	s_or_b64 exec, exec, s[0:1]
	s_load_dwordx2 s[6:7], s[4:5], 0x38
	s_cmp_lt_i32 s11, 1
	v_cmp_eq_u32_e64 s[0:1], 7, v1
	s_cbranch_scc1 .LBB4_15
; %bb.3:
	s_cmp_gt_i32 s9, 0
	s_cselect_b64 s[14:15], -1, 0
	s_abs_i32 s8, s3
	v_cvt_f32_u32_e32 v2, s8
	s_sub_i32 s2, 0, s8
	s_load_dwordx2 s[4:5], s[4:5], 0x18
	v_mbcnt_lo_u32_b32 v3, -1, 0
	v_rcp_iflag_f32_e32 v2, v2
	v_mbcnt_hi_u32_b32 v3, -1, v3
	v_cndmask_b32_e64 v9, 0, 1, s[14:15]
	v_mov_b32_e32 v6, 0
	v_mul_f32_e32 v2, 0x4f7ffffe, v2
	v_cvt_u32_f32_e32 v2, v2
	s_mov_b64 s[12:13], 0
	s_ashr_i32 s26, s3, 31
	v_mul_lo_u32 v7, s2, v2
	v_cmp_ne_u32_e64 s[2:3], 1, v9
	v_mov_b32_e32 v9, 0
	v_mul_hi_u32 v8, v2, v7
	v_lshl_or_b32 v7, v3, 2, 28
	v_add_u32_e32 v8, v2, v8
	s_branch .LBB4_6
.LBB4_4:                                ;   in Loop: Header=BB4_6 Depth=1
	s_or_b64 exec, exec, s[16:17]
.LBB4_5:                                ;   in Loop: Header=BB4_6 Depth=1
	s_or_b64 exec, exec, s[14:15]
	v_mov_b32_dpp v2, v10 row_shr:1 row_mask:0xf bank_mask:0xf
	v_min_i32_e32 v2, v2, v10
	s_nop 1
	v_mov_b32_dpp v3, v2 row_shr:2 row_mask:0xf bank_mask:0xf
	v_min_i32_e32 v2, v3, v2
	s_nop 1
	v_mov_b32_dpp v3, v2 row_shr:4 row_mask:0xf bank_mask:0xe
	v_min_i32_e32 v2, v3, v2
	ds_bpermute_b32 v2, v7, v2
	s_waitcnt lgkmcnt(0)
	v_cmp_gt_i32_e32 vcc, s11, v2
	v_add_u32_e32 v9, 1, v2
	s_and_b64 s[14:15], s[0:1], vcc
	v_cndmask_b32_e64 v2, 0, 1, s[14:15]
	v_cmp_le_i32_e32 vcc, s11, v9
	s_or_b64 s[12:13], vcc, s[12:13]
	v_add_u32_e32 v6, v6, v2
	s_andn2_b64 exec, exec, s[12:13]
	s_cbranch_execz .LBB4_14
.LBB4_6:                                ; =>This Loop Header: Depth=1
                                        ;     Child Loop BB4_10 Depth 2
                                        ;       Child Loop BB4_12 Depth 3
	v_cmp_lt_i32_e32 vcc, v5, v4
	v_mov_b32_e32 v10, s11
	s_and_saveexec_b64 s[14:15], vcc
	s_cbranch_execz .LBB4_5
; %bb.7:                                ;   in Loop: Header=BB4_6 Depth=1
	s_mov_b64 s[16:17], 0
	v_mov_b32_e32 v10, s11
	v_mov_b32_e32 v2, v5
	s_branch .LBB4_10
.LBB4_8:                                ;   in Loop: Header=BB4_10 Depth=2
	s_mov_b64 s[18:19], 0
.LBB4_9:                                ;   in Loop: Header=BB4_10 Depth=2
	v_add_u32_e32 v2, 1, v2
	v_cmp_ge_i32_e32 vcc, v2, v4
	s_or_b64 s[18:19], s[18:19], vcc
	s_and_b64 s[18:19], exec, s[18:19]
	s_or_b64 s[16:17], s[18:19], s[16:17]
	s_andn2_b64 exec, exec, s[16:17]
	s_cbranch_execz .LBB4_4
.LBB4_10:                               ;   Parent Loop BB4_6 Depth=1
                                        ; =>  This Loop Header: Depth=2
                                        ;       Child Loop BB4_12 Depth 3
	s_and_b64 vcc, exec, s[2:3]
	s_cbranch_vccnz .LBB4_8
; %bb.11:                               ;   in Loop: Header=BB4_10 Depth=2
	v_ashrrev_i32_e32 v3, 31, v2
	v_lshlrev_b64 v[11:12], 2, v[2:3]
	s_waitcnt lgkmcnt(0)
	v_mov_b32_e32 v3, s5
	v_add_co_u32_e32 v11, vcc, s4, v11
	v_addc_co_u32_e32 v12, vcc, v3, v12, vcc
	global_load_dword v3, v[11:12], off
	s_mov_b64 s[20:21], 0
	s_mov_b32 s27, 0
	s_mov_b64 s[22:23], 0
                                        ; implicit-def: $sgpr18_sgpr19
	s_waitcnt vmcnt(0)
	v_subrev_u32_e32 v3, s25, v3
	v_mul_lo_u32 v3, v3, s9
.LBB4_12:                               ;   Parent Loop BB4_6 Depth=1
                                        ;     Parent Loop BB4_10 Depth=2
                                        ; =>    This Inner Loop Header: Depth=3
	v_add_u32_e32 v11, s27, v3
	v_sub_u32_e32 v13, 0, v11
	v_ashrrev_i32_e32 v12, 31, v11
	v_max_i32_e32 v11, v11, v13
	v_mul_hi_u32 v13, v11, v8
	v_xor_b32_e32 v12, s26, v12
	s_add_i32 s27, s27, 1
	v_mul_lo_u32 v14, v13, s8
	v_add_u32_e32 v15, 1, v13
	v_sub_u32_e32 v11, v11, v14
	v_cmp_le_u32_e32 vcc, s8, v11
	v_subrev_u32_e32 v14, s8, v11
	v_cndmask_b32_e32 v13, v13, v15, vcc
	v_cndmask_b32_e32 v11, v11, v14, vcc
	v_add_u32_e32 v14, 1, v13
	v_cmp_le_u32_e32 vcc, s8, v11
	v_cndmask_b32_e32 v11, v13, v14, vcc
	v_xor_b32_e32 v11, v11, v12
	v_sub_u32_e32 v11, v11, v12
	v_cmp_ge_i32_e32 vcc, v11, v9
	s_or_b64 s[20:21], vcc, s[20:21]
	s_cmp_ge_i32 s27, s9
	s_cselect_b64 s[28:29], -1, 0
	s_or_b64 s[28:29], vcc, s[28:29]
	s_and_b64 s[28:29], exec, s[28:29]
	s_or_b64 s[22:23], s[28:29], s[22:23]
	s_andn2_b64 s[18:19], s[18:19], exec
	s_and_b64 s[28:29], s[20:21], exec
	v_cndmask_b32_e32 v10, v10, v11, vcc
	v_cndmask_b32_e32 v5, v5, v2, vcc
	s_or_b64 s[18:19], s[18:19], s[28:29]
	s_andn2_b64 exec, exec, s[22:23]
	s_cbranch_execnz .LBB4_12
; %bb.13:                               ;   in Loop: Header=BB4_10 Depth=2
	s_or_b64 exec, exec, s[22:23]
	s_branch .LBB4_9
.LBB4_14:
	s_or_b64 exec, exec, s[12:13]
	s_branch .LBB4_16
.LBB4_15:
	v_mov_b32_e32 v6, 0
.LBB4_16:
	v_cmp_gt_i32_e32 vcc, s10, v0
	v_cmp_eq_u32_e64 s[0:1], 7, v1
	s_and_b64 s[0:1], s[0:1], vcc
	s_and_saveexec_b64 s[2:3], s[0:1]
	s_cbranch_execz .LBB4_18
; %bb.17:
	v_ashrrev_i32_e32 v1, 31, v0
	v_lshlrev_b64 v[0:1], 2, v[0:1]
	s_waitcnt lgkmcnt(0)
	v_mov_b32_e32 v2, s7
	v_add_co_u32_e32 v0, vcc, s6, v0
	v_addc_co_u32_e32 v1, vcc, v2, v1, vcc
	v_mov_b32_e32 v2, 0
	v_mov_b32_e32 v3, s24
	global_store_dword v2, v3, s[6:7]
	global_store_dword v[0:1], v6, off offset:4
.LBB4_18:
	s_endpgm
	.section	.rodata,"a",@progbits
	.p2align	6, 0x0
	.amdhsa_kernel _ZN9rocsparseL27gebsr2gebsr_nnz_fast_kernelILi16ELi8EEEvii21rocsparse_index_base_PKiS3_iiiiS1_Piii
		.amdhsa_group_segment_fixed_size 0
		.amdhsa_private_segment_fixed_size 0
		.amdhsa_kernarg_size 72
		.amdhsa_user_sgpr_count 6
		.amdhsa_user_sgpr_private_segment_buffer 1
		.amdhsa_user_sgpr_dispatch_ptr 0
		.amdhsa_user_sgpr_queue_ptr 0
		.amdhsa_user_sgpr_kernarg_segment_ptr 1
		.amdhsa_user_sgpr_dispatch_id 0
		.amdhsa_user_sgpr_flat_scratch_init 0
		.amdhsa_user_sgpr_private_segment_size 0
		.amdhsa_uses_dynamic_stack 0
		.amdhsa_system_sgpr_private_segment_wavefront_offset 0
		.amdhsa_system_sgpr_workgroup_id_x 1
		.amdhsa_system_sgpr_workgroup_id_y 0
		.amdhsa_system_sgpr_workgroup_id_z 0
		.amdhsa_system_sgpr_workgroup_info 0
		.amdhsa_system_vgpr_workitem_id 0
		.amdhsa_next_free_vgpr 16
		.amdhsa_next_free_sgpr 30
		.amdhsa_reserve_vcc 1
		.amdhsa_reserve_flat_scratch 0
		.amdhsa_float_round_mode_32 0
		.amdhsa_float_round_mode_16_64 0
		.amdhsa_float_denorm_mode_32 3
		.amdhsa_float_denorm_mode_16_64 3
		.amdhsa_dx10_clamp 1
		.amdhsa_ieee_mode 1
		.amdhsa_fp16_overflow 0
		.amdhsa_exception_fp_ieee_invalid_op 0
		.amdhsa_exception_fp_denorm_src 0
		.amdhsa_exception_fp_ieee_div_zero 0
		.amdhsa_exception_fp_ieee_overflow 0
		.amdhsa_exception_fp_ieee_underflow 0
		.amdhsa_exception_fp_ieee_inexact 0
		.amdhsa_exception_int_div_zero 0
	.end_amdhsa_kernel
	.section	.text._ZN9rocsparseL27gebsr2gebsr_nnz_fast_kernelILi16ELi8EEEvii21rocsparse_index_base_PKiS3_iiiiS1_Piii,"axG",@progbits,_ZN9rocsparseL27gebsr2gebsr_nnz_fast_kernelILi16ELi8EEEvii21rocsparse_index_base_PKiS3_iiiiS1_Piii,comdat
.Lfunc_end4:
	.size	_ZN9rocsparseL27gebsr2gebsr_nnz_fast_kernelILi16ELi8EEEvii21rocsparse_index_base_PKiS3_iiiiS1_Piii, .Lfunc_end4-_ZN9rocsparseL27gebsr2gebsr_nnz_fast_kernelILi16ELi8EEEvii21rocsparse_index_base_PKiS3_iiiiS1_Piii
                                        ; -- End function
	.set _ZN9rocsparseL27gebsr2gebsr_nnz_fast_kernelILi16ELi8EEEvii21rocsparse_index_base_PKiS3_iiiiS1_Piii.num_vgpr, 16
	.set _ZN9rocsparseL27gebsr2gebsr_nnz_fast_kernelILi16ELi8EEEvii21rocsparse_index_base_PKiS3_iiiiS1_Piii.num_agpr, 0
	.set _ZN9rocsparseL27gebsr2gebsr_nnz_fast_kernelILi16ELi8EEEvii21rocsparse_index_base_PKiS3_iiiiS1_Piii.numbered_sgpr, 30
	.set _ZN9rocsparseL27gebsr2gebsr_nnz_fast_kernelILi16ELi8EEEvii21rocsparse_index_base_PKiS3_iiiiS1_Piii.num_named_barrier, 0
	.set _ZN9rocsparseL27gebsr2gebsr_nnz_fast_kernelILi16ELi8EEEvii21rocsparse_index_base_PKiS3_iiiiS1_Piii.private_seg_size, 0
	.set _ZN9rocsparseL27gebsr2gebsr_nnz_fast_kernelILi16ELi8EEEvii21rocsparse_index_base_PKiS3_iiiiS1_Piii.uses_vcc, 1
	.set _ZN9rocsparseL27gebsr2gebsr_nnz_fast_kernelILi16ELi8EEEvii21rocsparse_index_base_PKiS3_iiiiS1_Piii.uses_flat_scratch, 0
	.set _ZN9rocsparseL27gebsr2gebsr_nnz_fast_kernelILi16ELi8EEEvii21rocsparse_index_base_PKiS3_iiiiS1_Piii.has_dyn_sized_stack, 0
	.set _ZN9rocsparseL27gebsr2gebsr_nnz_fast_kernelILi16ELi8EEEvii21rocsparse_index_base_PKiS3_iiiiS1_Piii.has_recursion, 0
	.set _ZN9rocsparseL27gebsr2gebsr_nnz_fast_kernelILi16ELi8EEEvii21rocsparse_index_base_PKiS3_iiiiS1_Piii.has_indirect_call, 0
	.section	.AMDGPU.csdata,"",@progbits
; Kernel info:
; codeLenInByte = 936
; TotalNumSgprs: 34
; NumVgprs: 16
; ScratchSize: 0
; MemoryBound: 0
; FloatMode: 240
; IeeeMode: 1
; LDSByteSize: 0 bytes/workgroup (compile time only)
; SGPRBlocks: 4
; VGPRBlocks: 3
; NumSGPRsForWavesPerEU: 34
; NumVGPRsForWavesPerEU: 16
; Occupancy: 10
; WaveLimiterHint : 0
; COMPUTE_PGM_RSRC2:SCRATCH_EN: 0
; COMPUTE_PGM_RSRC2:USER_SGPR: 6
; COMPUTE_PGM_RSRC2:TRAP_HANDLER: 0
; COMPUTE_PGM_RSRC2:TGID_X_EN: 1
; COMPUTE_PGM_RSRC2:TGID_Y_EN: 0
; COMPUTE_PGM_RSRC2:TGID_Z_EN: 0
; COMPUTE_PGM_RSRC2:TIDIG_COMP_CNT: 0
	.section	.text._ZN9rocsparseL27gebsr2gebsr_nnz_fast_kernelILi16ELi16EEEvii21rocsparse_index_base_PKiS3_iiiiS1_Piii,"axG",@progbits,_ZN9rocsparseL27gebsr2gebsr_nnz_fast_kernelILi16ELi16EEEvii21rocsparse_index_base_PKiS3_iiiiS1_Piii,comdat
	.globl	_ZN9rocsparseL27gebsr2gebsr_nnz_fast_kernelILi16ELi16EEEvii21rocsparse_index_base_PKiS3_iiiiS1_Piii ; -- Begin function _ZN9rocsparseL27gebsr2gebsr_nnz_fast_kernelILi16ELi16EEEvii21rocsparse_index_base_PKiS3_iiiiS1_Piii
	.p2align	8
	.type	_ZN9rocsparseL27gebsr2gebsr_nnz_fast_kernelILi16ELi16EEEvii21rocsparse_index_base_PKiS3_iiiiS1_Piii,@function
_ZN9rocsparseL27gebsr2gebsr_nnz_fast_kernelILi16ELi16EEEvii21rocsparse_index_base_PKiS3_iiiiS1_Piii: ; @_ZN9rocsparseL27gebsr2gebsr_nnz_fast_kernelILi16ELi16EEEvii21rocsparse_index_base_PKiS3_iiiiS1_Piii
; %bb.0:
	s_load_dwordx4 s[8:11], s[4:5], 0x20
	s_load_dword s26, s[4:5], 0x30
	s_load_dwordx2 s[2:3], s[4:5], 0x40
	s_load_dword s13, s[4:5], 0x0
	s_load_dword s7, s[4:5], 0x8
	s_waitcnt lgkmcnt(0)
	s_abs_i32 s12, s8
	v_cvt_f32_u32_e32 v1, s12
	s_sub_i32 s0, 0, s12
	v_cmp_gt_i32_e32 vcc, s2, v0
	v_rcp_iflag_f32_e32 v1, v1
	v_mul_f32_e32 v1, 0x4f7ffffe, v1
	v_cvt_u32_f32_e32 v1, v1
	v_mul_lo_u32 v2, s0, v1
	s_mul_i32 s0, s2, s6
	v_add_u32_e32 v4, s0, v0
	v_sub_u32_e32 v3, 0, v4
	v_mul_hi_u32 v2, v1, v2
	v_max_i32_e32 v5, v4, v3
	v_xor_b32_e32 v4, s8, v4
	v_ashrrev_i32_e32 v4, 31, v4
	v_add_u32_e32 v1, v1, v2
	v_mul_hi_u32 v1, v5, v1
	v_mov_b32_e32 v3, 0
	v_mul_lo_u32 v2, v1, s12
	v_add_u32_e32 v6, 1, v1
	v_sub_u32_e32 v2, v5, v2
	v_cmp_le_u32_e64 s[0:1], s12, v2
	v_subrev_u32_e32 v5, s12, v2
	v_cndmask_b32_e64 v1, v1, v6, s[0:1]
	v_cndmask_b32_e64 v2, v2, v5, s[0:1]
	v_add_u32_e32 v5, 1, v1
	v_cmp_le_u32_e64 s[0:1], s12, v2
	v_cndmask_b32_e64 v1, v1, v5, s[0:1]
	v_xor_b32_e32 v1, v1, v4
	v_sub_u32_e32 v1, v1, v4
	v_cmp_gt_i32_e64 s[0:1], s13, v1
	s_and_b64 s[12:13], vcc, s[0:1]
	v_mov_b32_e32 v4, 0
	s_and_saveexec_b64 s[0:1], s[12:13]
	s_cbranch_execz .LBB5_2
; %bb.1:
	s_load_dwordx2 s[12:13], s[4:5], 0x10
	v_ashrrev_i32_e32 v2, 31, v1
	v_lshlrev_b64 v[1:2], 2, v[1:2]
	s_waitcnt lgkmcnt(0)
	v_mov_b32_e32 v3, s13
	v_add_co_u32_e32 v1, vcc, s12, v1
	v_addc_co_u32_e32 v2, vcc, v3, v2, vcc
	global_load_dwordx2 v[1:2], v[1:2], off
	s_waitcnt vmcnt(0)
	v_subrev_u32_e32 v4, s7, v1
	v_subrev_u32_e32 v3, s7, v2
.LBB5_2:
	s_or_b64 exec, exec, s[0:1]
	s_load_dwordx2 s[12:13], s[4:5], 0x38
	s_cmp_lt_i32 s11, 1
	v_cmp_eq_u32_e64 s[0:1], 15, v0
	s_cbranch_scc1 .LBB5_15
; %bb.3:
	s_cmp_gt_i32 s9, 0
	s_cselect_b64 s[16:17], -1, 0
	s_abs_i32 s8, s3
	v_cvt_f32_u32_e32 v1, s8
	s_sub_i32 s2, 0, s8
	s_load_dwordx2 s[4:5], s[4:5], 0x18
	v_mbcnt_lo_u32_b32 v2, -1, 0
	v_rcp_iflag_f32_e32 v1, v1
	v_mbcnt_hi_u32_b32 v2, -1, v2
	v_cndmask_b32_e64 v8, 0, 1, s[16:17]
	v_mov_b32_e32 v5, 0
	v_mul_f32_e32 v1, 0x4f7ffffe, v1
	v_cvt_u32_f32_e32 v1, v1
	s_mov_b64 s[14:15], 0
	s_ashr_i32 s27, s3, 31
	v_mul_lo_u32 v6, s2, v1
	v_cmp_ne_u32_e64 s[2:3], 1, v8
	v_mov_b32_e32 v8, 0
	v_mul_hi_u32 v7, v1, v6
	v_lshl_or_b32 v6, v2, 2, 60
	v_add_u32_e32 v7, v1, v7
	s_branch .LBB5_6
.LBB5_4:                                ;   in Loop: Header=BB5_6 Depth=1
	s_or_b64 exec, exec, s[18:19]
.LBB5_5:                                ;   in Loop: Header=BB5_6 Depth=1
	s_or_b64 exec, exec, s[16:17]
	v_mov_b32_dpp v1, v9 row_shr:1 row_mask:0xf bank_mask:0xf
	v_min_i32_e32 v1, v1, v9
	s_nop 1
	v_mov_b32_dpp v2, v1 row_shr:2 row_mask:0xf bank_mask:0xf
	v_min_i32_e32 v1, v2, v1
	s_nop 1
	;; [unrolled: 3-line block ×3, first 2 shown]
	v_mov_b32_dpp v2, v1 row_shr:8 row_mask:0xf bank_mask:0xc
	v_min_i32_e32 v1, v2, v1
	ds_bpermute_b32 v1, v6, v1
	s_waitcnt lgkmcnt(0)
	v_cmp_gt_i32_e32 vcc, s11, v1
	v_add_u32_e32 v8, 1, v1
	s_and_b64 s[16:17], s[0:1], vcc
	v_cndmask_b32_e64 v1, 0, 1, s[16:17]
	v_cmp_le_i32_e32 vcc, s11, v8
	s_or_b64 s[14:15], vcc, s[14:15]
	v_add_u32_e32 v5, v5, v1
	s_andn2_b64 exec, exec, s[14:15]
	s_cbranch_execz .LBB5_14
.LBB5_6:                                ; =>This Loop Header: Depth=1
                                        ;     Child Loop BB5_10 Depth 2
                                        ;       Child Loop BB5_12 Depth 3
	v_cmp_lt_i32_e32 vcc, v4, v3
	v_mov_b32_e32 v9, s11
	s_and_saveexec_b64 s[16:17], vcc
	s_cbranch_execz .LBB5_5
; %bb.7:                                ;   in Loop: Header=BB5_6 Depth=1
	s_mov_b64 s[18:19], 0
	v_mov_b32_e32 v9, s11
	v_mov_b32_e32 v1, v4
	s_branch .LBB5_10
.LBB5_8:                                ;   in Loop: Header=BB5_10 Depth=2
	s_mov_b64 s[20:21], 0
.LBB5_9:                                ;   in Loop: Header=BB5_10 Depth=2
	v_add_u32_e32 v1, 1, v1
	v_cmp_ge_i32_e32 vcc, v1, v3
	s_or_b64 s[20:21], s[20:21], vcc
	s_and_b64 s[20:21], exec, s[20:21]
	s_or_b64 s[18:19], s[20:21], s[18:19]
	s_andn2_b64 exec, exec, s[18:19]
	s_cbranch_execz .LBB5_4
.LBB5_10:                               ;   Parent Loop BB5_6 Depth=1
                                        ; =>  This Loop Header: Depth=2
                                        ;       Child Loop BB5_12 Depth 3
	s_and_b64 vcc, exec, s[2:3]
	s_cbranch_vccnz .LBB5_8
; %bb.11:                               ;   in Loop: Header=BB5_10 Depth=2
	v_ashrrev_i32_e32 v2, 31, v1
	v_lshlrev_b64 v[10:11], 2, v[1:2]
	s_waitcnt lgkmcnt(0)
	v_mov_b32_e32 v2, s5
	v_add_co_u32_e32 v10, vcc, s4, v10
	v_addc_co_u32_e32 v11, vcc, v2, v11, vcc
	global_load_dword v2, v[10:11], off
	s_mov_b64 s[22:23], 0
	s_mov_b32 s28, 0
	s_mov_b64 s[24:25], 0
                                        ; implicit-def: $sgpr20_sgpr21
	s_waitcnt vmcnt(0)
	v_subrev_u32_e32 v2, s7, v2
	v_mul_lo_u32 v2, v2, s9
.LBB5_12:                               ;   Parent Loop BB5_6 Depth=1
                                        ;     Parent Loop BB5_10 Depth=2
                                        ; =>    This Inner Loop Header: Depth=3
	v_add_u32_e32 v10, s28, v2
	v_sub_u32_e32 v12, 0, v10
	v_ashrrev_i32_e32 v11, 31, v10
	v_max_i32_e32 v10, v10, v12
	v_mul_hi_u32 v12, v10, v7
	v_xor_b32_e32 v11, s27, v11
	s_add_i32 s28, s28, 1
	v_mul_lo_u32 v13, v12, s8
	v_add_u32_e32 v14, 1, v12
	v_sub_u32_e32 v10, v10, v13
	v_cmp_le_u32_e32 vcc, s8, v10
	v_subrev_u32_e32 v13, s8, v10
	v_cndmask_b32_e32 v12, v12, v14, vcc
	v_cndmask_b32_e32 v10, v10, v13, vcc
	v_add_u32_e32 v13, 1, v12
	v_cmp_le_u32_e32 vcc, s8, v10
	v_cndmask_b32_e32 v10, v12, v13, vcc
	v_xor_b32_e32 v10, v10, v11
	v_sub_u32_e32 v10, v10, v11
	v_cmp_ge_i32_e32 vcc, v10, v8
	s_or_b64 s[22:23], vcc, s[22:23]
	s_cmp_ge_i32 s28, s9
	s_cselect_b64 s[30:31], -1, 0
	s_or_b64 s[30:31], vcc, s[30:31]
	s_and_b64 s[30:31], exec, s[30:31]
	s_or_b64 s[24:25], s[30:31], s[24:25]
	s_andn2_b64 s[20:21], s[20:21], exec
	s_and_b64 s[30:31], s[22:23], exec
	v_cndmask_b32_e32 v9, v9, v10, vcc
	v_cndmask_b32_e32 v4, v4, v1, vcc
	s_or_b64 s[20:21], s[20:21], s[30:31]
	s_andn2_b64 exec, exec, s[24:25]
	s_cbranch_execnz .LBB5_12
; %bb.13:                               ;   in Loop: Header=BB5_10 Depth=2
	s_or_b64 exec, exec, s[24:25]
	s_branch .LBB5_9
.LBB5_14:
	s_or_b64 exec, exec, s[14:15]
	s_branch .LBB5_16
.LBB5_15:
	v_mov_b32_e32 v5, 0
.LBB5_16:
	s_cmp_lt_i32 s6, s10
	s_cselect_b64 s[0:1], -1, 0
	v_cmp_eq_u32_e32 vcc, 15, v0
	s_and_b64 s[0:1], vcc, s[0:1]
	s_and_saveexec_b64 s[2:3], s[0:1]
	s_cbranch_execz .LBB5_18
; %bb.17:
	s_ashr_i32 s7, s6, 31
	s_lshl_b64 s[0:1], s[6:7], 2
	s_waitcnt lgkmcnt(0)
	s_add_u32 s0, s12, s0
	v_mov_b32_e32 v0, 0
	v_mov_b32_e32 v1, s26
	s_addc_u32 s1, s13, s1
	global_store_dword v0, v1, s[12:13]
	global_store_dword v0, v5, s[0:1] offset:4
.LBB5_18:
	s_endpgm
	.section	.rodata,"a",@progbits
	.p2align	6, 0x0
	.amdhsa_kernel _ZN9rocsparseL27gebsr2gebsr_nnz_fast_kernelILi16ELi16EEEvii21rocsparse_index_base_PKiS3_iiiiS1_Piii
		.amdhsa_group_segment_fixed_size 0
		.amdhsa_private_segment_fixed_size 0
		.amdhsa_kernarg_size 72
		.amdhsa_user_sgpr_count 6
		.amdhsa_user_sgpr_private_segment_buffer 1
		.amdhsa_user_sgpr_dispatch_ptr 0
		.amdhsa_user_sgpr_queue_ptr 0
		.amdhsa_user_sgpr_kernarg_segment_ptr 1
		.amdhsa_user_sgpr_dispatch_id 0
		.amdhsa_user_sgpr_flat_scratch_init 0
		.amdhsa_user_sgpr_private_segment_size 0
		.amdhsa_uses_dynamic_stack 0
		.amdhsa_system_sgpr_private_segment_wavefront_offset 0
		.amdhsa_system_sgpr_workgroup_id_x 1
		.amdhsa_system_sgpr_workgroup_id_y 0
		.amdhsa_system_sgpr_workgroup_id_z 0
		.amdhsa_system_sgpr_workgroup_info 0
		.amdhsa_system_vgpr_workitem_id 0
		.amdhsa_next_free_vgpr 15
		.amdhsa_next_free_sgpr 32
		.amdhsa_reserve_vcc 1
		.amdhsa_reserve_flat_scratch 0
		.amdhsa_float_round_mode_32 0
		.amdhsa_float_round_mode_16_64 0
		.amdhsa_float_denorm_mode_32 3
		.amdhsa_float_denorm_mode_16_64 3
		.amdhsa_dx10_clamp 1
		.amdhsa_ieee_mode 1
		.amdhsa_fp16_overflow 0
		.amdhsa_exception_fp_ieee_invalid_op 0
		.amdhsa_exception_fp_denorm_src 0
		.amdhsa_exception_fp_ieee_div_zero 0
		.amdhsa_exception_fp_ieee_overflow 0
		.amdhsa_exception_fp_ieee_underflow 0
		.amdhsa_exception_fp_ieee_inexact 0
		.amdhsa_exception_int_div_zero 0
	.end_amdhsa_kernel
	.section	.text._ZN9rocsparseL27gebsr2gebsr_nnz_fast_kernelILi16ELi16EEEvii21rocsparse_index_base_PKiS3_iiiiS1_Piii,"axG",@progbits,_ZN9rocsparseL27gebsr2gebsr_nnz_fast_kernelILi16ELi16EEEvii21rocsparse_index_base_PKiS3_iiiiS1_Piii,comdat
.Lfunc_end5:
	.size	_ZN9rocsparseL27gebsr2gebsr_nnz_fast_kernelILi16ELi16EEEvii21rocsparse_index_base_PKiS3_iiiiS1_Piii, .Lfunc_end5-_ZN9rocsparseL27gebsr2gebsr_nnz_fast_kernelILi16ELi16EEEvii21rocsparse_index_base_PKiS3_iiiiS1_Piii
                                        ; -- End function
	.set _ZN9rocsparseL27gebsr2gebsr_nnz_fast_kernelILi16ELi16EEEvii21rocsparse_index_base_PKiS3_iiiiS1_Piii.num_vgpr, 15
	.set _ZN9rocsparseL27gebsr2gebsr_nnz_fast_kernelILi16ELi16EEEvii21rocsparse_index_base_PKiS3_iiiiS1_Piii.num_agpr, 0
	.set _ZN9rocsparseL27gebsr2gebsr_nnz_fast_kernelILi16ELi16EEEvii21rocsparse_index_base_PKiS3_iiiiS1_Piii.numbered_sgpr, 32
	.set _ZN9rocsparseL27gebsr2gebsr_nnz_fast_kernelILi16ELi16EEEvii21rocsparse_index_base_PKiS3_iiiiS1_Piii.num_named_barrier, 0
	.set _ZN9rocsparseL27gebsr2gebsr_nnz_fast_kernelILi16ELi16EEEvii21rocsparse_index_base_PKiS3_iiiiS1_Piii.private_seg_size, 0
	.set _ZN9rocsparseL27gebsr2gebsr_nnz_fast_kernelILi16ELi16EEEvii21rocsparse_index_base_PKiS3_iiiiS1_Piii.uses_vcc, 1
	.set _ZN9rocsparseL27gebsr2gebsr_nnz_fast_kernelILi16ELi16EEEvii21rocsparse_index_base_PKiS3_iiiiS1_Piii.uses_flat_scratch, 0
	.set _ZN9rocsparseL27gebsr2gebsr_nnz_fast_kernelILi16ELi16EEEvii21rocsparse_index_base_PKiS3_iiiiS1_Piii.has_dyn_sized_stack, 0
	.set _ZN9rocsparseL27gebsr2gebsr_nnz_fast_kernelILi16ELi16EEEvii21rocsparse_index_base_PKiS3_iiiiS1_Piii.has_recursion, 0
	.set _ZN9rocsparseL27gebsr2gebsr_nnz_fast_kernelILi16ELi16EEEvii21rocsparse_index_base_PKiS3_iiiiS1_Piii.has_indirect_call, 0
	.section	.AMDGPU.csdata,"",@progbits
; Kernel info:
; codeLenInByte = 924
; TotalNumSgprs: 36
; NumVgprs: 15
; ScratchSize: 0
; MemoryBound: 0
; FloatMode: 240
; IeeeMode: 1
; LDSByteSize: 0 bytes/workgroup (compile time only)
; SGPRBlocks: 4
; VGPRBlocks: 3
; NumSGPRsForWavesPerEU: 36
; NumVGPRsForWavesPerEU: 15
; Occupancy: 10
; WaveLimiterHint : 0
; COMPUTE_PGM_RSRC2:SCRATCH_EN: 0
; COMPUTE_PGM_RSRC2:USER_SGPR: 6
; COMPUTE_PGM_RSRC2:TRAP_HANDLER: 0
; COMPUTE_PGM_RSRC2:TGID_X_EN: 1
; COMPUTE_PGM_RSRC2:TGID_Y_EN: 0
; COMPUTE_PGM_RSRC2:TGID_Z_EN: 0
; COMPUTE_PGM_RSRC2:TIDIG_COMP_CNT: 0
	.section	.text._ZN9rocsparseL27gebsr2gebsr_nnz_fast_kernelILi32ELi32EEEvii21rocsparse_index_base_PKiS3_iiiiS1_Piii,"axG",@progbits,_ZN9rocsparseL27gebsr2gebsr_nnz_fast_kernelILi32ELi32EEEvii21rocsparse_index_base_PKiS3_iiiiS1_Piii,comdat
	.globl	_ZN9rocsparseL27gebsr2gebsr_nnz_fast_kernelILi32ELi32EEEvii21rocsparse_index_base_PKiS3_iiiiS1_Piii ; -- Begin function _ZN9rocsparseL27gebsr2gebsr_nnz_fast_kernelILi32ELi32EEEvii21rocsparse_index_base_PKiS3_iiiiS1_Piii
	.p2align	8
	.type	_ZN9rocsparseL27gebsr2gebsr_nnz_fast_kernelILi32ELi32EEEvii21rocsparse_index_base_PKiS3_iiiiS1_Piii,@function
_ZN9rocsparseL27gebsr2gebsr_nnz_fast_kernelILi32ELi32EEEvii21rocsparse_index_base_PKiS3_iiiiS1_Piii: ; @_ZN9rocsparseL27gebsr2gebsr_nnz_fast_kernelILi32ELi32EEEvii21rocsparse_index_base_PKiS3_iiiiS1_Piii
; %bb.0:
	s_load_dwordx4 s[8:11], s[4:5], 0x20
	s_load_dword s26, s[4:5], 0x30
	s_load_dwordx2 s[2:3], s[4:5], 0x40
	s_load_dword s13, s[4:5], 0x0
	s_load_dword s7, s[4:5], 0x8
	s_waitcnt lgkmcnt(0)
	s_abs_i32 s12, s8
	v_cvt_f32_u32_e32 v1, s12
	s_sub_i32 s0, 0, s12
	v_cmp_gt_i32_e32 vcc, s2, v0
	v_rcp_iflag_f32_e32 v1, v1
	v_mul_f32_e32 v1, 0x4f7ffffe, v1
	v_cvt_u32_f32_e32 v1, v1
	v_mul_lo_u32 v2, s0, v1
	s_mul_i32 s0, s2, s6
	v_add_u32_e32 v4, s0, v0
	v_sub_u32_e32 v3, 0, v4
	v_mul_hi_u32 v2, v1, v2
	v_max_i32_e32 v5, v4, v3
	v_xor_b32_e32 v4, s8, v4
	v_ashrrev_i32_e32 v4, 31, v4
	v_add_u32_e32 v1, v1, v2
	v_mul_hi_u32 v1, v5, v1
	v_mov_b32_e32 v3, 0
	v_mul_lo_u32 v2, v1, s12
	v_add_u32_e32 v6, 1, v1
	v_sub_u32_e32 v2, v5, v2
	v_cmp_le_u32_e64 s[0:1], s12, v2
	v_subrev_u32_e32 v5, s12, v2
	v_cndmask_b32_e64 v1, v1, v6, s[0:1]
	v_cndmask_b32_e64 v2, v2, v5, s[0:1]
	v_add_u32_e32 v5, 1, v1
	v_cmp_le_u32_e64 s[0:1], s12, v2
	v_cndmask_b32_e64 v1, v1, v5, s[0:1]
	v_xor_b32_e32 v1, v1, v4
	v_sub_u32_e32 v1, v1, v4
	v_cmp_gt_i32_e64 s[0:1], s13, v1
	s_and_b64 s[12:13], vcc, s[0:1]
	v_mov_b32_e32 v4, 0
	s_and_saveexec_b64 s[0:1], s[12:13]
	s_cbranch_execz .LBB6_2
; %bb.1:
	s_load_dwordx2 s[12:13], s[4:5], 0x10
	v_ashrrev_i32_e32 v2, 31, v1
	v_lshlrev_b64 v[1:2], 2, v[1:2]
	s_waitcnt lgkmcnt(0)
	v_mov_b32_e32 v3, s13
	v_add_co_u32_e32 v1, vcc, s12, v1
	v_addc_co_u32_e32 v2, vcc, v3, v2, vcc
	global_load_dwordx2 v[1:2], v[1:2], off
	s_waitcnt vmcnt(0)
	v_subrev_u32_e32 v4, s7, v1
	v_subrev_u32_e32 v3, s7, v2
.LBB6_2:
	s_or_b64 exec, exec, s[0:1]
	s_load_dwordx2 s[12:13], s[4:5], 0x38
	s_cmp_lt_i32 s11, 1
	v_cmp_eq_u32_e64 s[0:1], 31, v0
	s_cbranch_scc1 .LBB6_15
; %bb.3:
	s_cmp_gt_i32 s9, 0
	s_cselect_b64 s[16:17], -1, 0
	s_abs_i32 s8, s3
	v_cvt_f32_u32_e32 v1, s8
	s_sub_i32 s2, 0, s8
	s_load_dwordx2 s[4:5], s[4:5], 0x18
	v_mbcnt_lo_u32_b32 v2, -1, 0
	v_rcp_iflag_f32_e32 v1, v1
	v_mov_b32_e32 v6, 0x7c
	v_mbcnt_hi_u32_b32 v2, -1, v2
	v_cndmask_b32_e64 v8, 0, 1, s[16:17]
	v_mul_f32_e32 v1, 0x4f7ffffe, v1
	v_cvt_u32_f32_e32 v1, v1
	v_mov_b32_e32 v5, 0
	s_mov_b64 s[14:15], 0
	s_ashr_i32 s27, s3, 31
	v_mul_lo_u32 v7, s2, v1
	v_lshl_or_b32 v6, v2, 2, v6
	v_cmp_ne_u32_e64 s[2:3], 1, v8
	v_mov_b32_e32 v8, 0
	v_mul_hi_u32 v7, v1, v7
	v_add_u32_e32 v7, v1, v7
	s_branch .LBB6_6
.LBB6_4:                                ;   in Loop: Header=BB6_6 Depth=1
	s_or_b64 exec, exec, s[18:19]
.LBB6_5:                                ;   in Loop: Header=BB6_6 Depth=1
	s_or_b64 exec, exec, s[16:17]
	v_mov_b32_dpp v1, v9 row_shr:1 row_mask:0xf bank_mask:0xf
	v_min_i32_e32 v1, v1, v9
	s_nop 1
	v_mov_b32_dpp v2, v1 row_shr:2 row_mask:0xf bank_mask:0xf
	v_min_i32_e32 v1, v2, v1
	s_nop 1
	;; [unrolled: 3-line block ×4, first 2 shown]
	v_mov_b32_dpp v2, v1 row_bcast:15 row_mask:0xa bank_mask:0xf
	v_min_i32_e32 v1, v2, v1
	ds_bpermute_b32 v1, v6, v1
	s_waitcnt lgkmcnt(0)
	v_cmp_gt_i32_e32 vcc, s11, v1
	v_add_u32_e32 v8, 1, v1
	s_and_b64 s[16:17], s[0:1], vcc
	v_cndmask_b32_e64 v1, 0, 1, s[16:17]
	v_cmp_le_i32_e32 vcc, s11, v8
	s_or_b64 s[14:15], vcc, s[14:15]
	v_add_u32_e32 v5, v5, v1
	s_andn2_b64 exec, exec, s[14:15]
	s_cbranch_execz .LBB6_14
.LBB6_6:                                ; =>This Loop Header: Depth=1
                                        ;     Child Loop BB6_10 Depth 2
                                        ;       Child Loop BB6_12 Depth 3
	v_cmp_lt_i32_e32 vcc, v4, v3
	v_mov_b32_e32 v9, s11
	s_and_saveexec_b64 s[16:17], vcc
	s_cbranch_execz .LBB6_5
; %bb.7:                                ;   in Loop: Header=BB6_6 Depth=1
	s_mov_b64 s[18:19], 0
	v_mov_b32_e32 v9, s11
	v_mov_b32_e32 v1, v4
	s_branch .LBB6_10
.LBB6_8:                                ;   in Loop: Header=BB6_10 Depth=2
	s_mov_b64 s[20:21], 0
.LBB6_9:                                ;   in Loop: Header=BB6_10 Depth=2
	v_add_u32_e32 v1, 1, v1
	v_cmp_ge_i32_e32 vcc, v1, v3
	s_or_b64 s[20:21], s[20:21], vcc
	s_and_b64 s[20:21], exec, s[20:21]
	s_or_b64 s[18:19], s[20:21], s[18:19]
	s_andn2_b64 exec, exec, s[18:19]
	s_cbranch_execz .LBB6_4
.LBB6_10:                               ;   Parent Loop BB6_6 Depth=1
                                        ; =>  This Loop Header: Depth=2
                                        ;       Child Loop BB6_12 Depth 3
	s_and_b64 vcc, exec, s[2:3]
	s_cbranch_vccnz .LBB6_8
; %bb.11:                               ;   in Loop: Header=BB6_10 Depth=2
	v_ashrrev_i32_e32 v2, 31, v1
	v_lshlrev_b64 v[10:11], 2, v[1:2]
	s_waitcnt lgkmcnt(0)
	v_mov_b32_e32 v2, s5
	v_add_co_u32_e32 v10, vcc, s4, v10
	v_addc_co_u32_e32 v11, vcc, v2, v11, vcc
	global_load_dword v2, v[10:11], off
	s_mov_b64 s[22:23], 0
	s_mov_b32 s28, 0
	s_mov_b64 s[24:25], 0
                                        ; implicit-def: $sgpr20_sgpr21
	s_waitcnt vmcnt(0)
	v_subrev_u32_e32 v2, s7, v2
	v_mul_lo_u32 v2, v2, s9
.LBB6_12:                               ;   Parent Loop BB6_6 Depth=1
                                        ;     Parent Loop BB6_10 Depth=2
                                        ; =>    This Inner Loop Header: Depth=3
	v_add_u32_e32 v10, s28, v2
	v_sub_u32_e32 v12, 0, v10
	v_ashrrev_i32_e32 v11, 31, v10
	v_max_i32_e32 v10, v10, v12
	v_mul_hi_u32 v12, v10, v7
	v_xor_b32_e32 v11, s27, v11
	s_add_i32 s28, s28, 1
	v_mul_lo_u32 v13, v12, s8
	v_add_u32_e32 v14, 1, v12
	v_sub_u32_e32 v10, v10, v13
	v_cmp_le_u32_e32 vcc, s8, v10
	v_subrev_u32_e32 v13, s8, v10
	v_cndmask_b32_e32 v12, v12, v14, vcc
	v_cndmask_b32_e32 v10, v10, v13, vcc
	v_add_u32_e32 v13, 1, v12
	v_cmp_le_u32_e32 vcc, s8, v10
	v_cndmask_b32_e32 v10, v12, v13, vcc
	v_xor_b32_e32 v10, v10, v11
	v_sub_u32_e32 v10, v10, v11
	v_cmp_ge_i32_e32 vcc, v10, v8
	s_or_b64 s[22:23], vcc, s[22:23]
	s_cmp_ge_i32 s28, s9
	s_cselect_b64 s[30:31], -1, 0
	s_or_b64 s[30:31], vcc, s[30:31]
	s_and_b64 s[30:31], exec, s[30:31]
	s_or_b64 s[24:25], s[30:31], s[24:25]
	s_andn2_b64 s[20:21], s[20:21], exec
	s_and_b64 s[30:31], s[22:23], exec
	v_cndmask_b32_e32 v9, v9, v10, vcc
	v_cndmask_b32_e32 v4, v4, v1, vcc
	s_or_b64 s[20:21], s[20:21], s[30:31]
	s_andn2_b64 exec, exec, s[24:25]
	s_cbranch_execnz .LBB6_12
; %bb.13:                               ;   in Loop: Header=BB6_10 Depth=2
	s_or_b64 exec, exec, s[24:25]
	s_branch .LBB6_9
.LBB6_14:
	s_or_b64 exec, exec, s[14:15]
	s_branch .LBB6_16
.LBB6_15:
	v_mov_b32_e32 v5, 0
.LBB6_16:
	s_cmp_lt_i32 s6, s10
	s_cselect_b64 s[0:1], -1, 0
	v_cmp_eq_u32_e32 vcc, 31, v0
	s_and_b64 s[0:1], vcc, s[0:1]
	s_and_saveexec_b64 s[2:3], s[0:1]
	s_cbranch_execz .LBB6_18
; %bb.17:
	s_ashr_i32 s7, s6, 31
	s_lshl_b64 s[0:1], s[6:7], 2
	s_waitcnt lgkmcnt(0)
	s_add_u32 s0, s12, s0
	v_mov_b32_e32 v0, 0
	v_mov_b32_e32 v1, s26
	s_addc_u32 s1, s13, s1
	global_store_dword v0, v1, s[12:13]
	global_store_dword v0, v5, s[0:1] offset:4
.LBB6_18:
	s_endpgm
	.section	.rodata,"a",@progbits
	.p2align	6, 0x0
	.amdhsa_kernel _ZN9rocsparseL27gebsr2gebsr_nnz_fast_kernelILi32ELi32EEEvii21rocsparse_index_base_PKiS3_iiiiS1_Piii
		.amdhsa_group_segment_fixed_size 0
		.amdhsa_private_segment_fixed_size 0
		.amdhsa_kernarg_size 72
		.amdhsa_user_sgpr_count 6
		.amdhsa_user_sgpr_private_segment_buffer 1
		.amdhsa_user_sgpr_dispatch_ptr 0
		.amdhsa_user_sgpr_queue_ptr 0
		.amdhsa_user_sgpr_kernarg_segment_ptr 1
		.amdhsa_user_sgpr_dispatch_id 0
		.amdhsa_user_sgpr_flat_scratch_init 0
		.amdhsa_user_sgpr_private_segment_size 0
		.amdhsa_uses_dynamic_stack 0
		.amdhsa_system_sgpr_private_segment_wavefront_offset 0
		.amdhsa_system_sgpr_workgroup_id_x 1
		.amdhsa_system_sgpr_workgroup_id_y 0
		.amdhsa_system_sgpr_workgroup_id_z 0
		.amdhsa_system_sgpr_workgroup_info 0
		.amdhsa_system_vgpr_workitem_id 0
		.amdhsa_next_free_vgpr 15
		.amdhsa_next_free_sgpr 32
		.amdhsa_reserve_vcc 1
		.amdhsa_reserve_flat_scratch 0
		.amdhsa_float_round_mode_32 0
		.amdhsa_float_round_mode_16_64 0
		.amdhsa_float_denorm_mode_32 3
		.amdhsa_float_denorm_mode_16_64 3
		.amdhsa_dx10_clamp 1
		.amdhsa_ieee_mode 1
		.amdhsa_fp16_overflow 0
		.amdhsa_exception_fp_ieee_invalid_op 0
		.amdhsa_exception_fp_denorm_src 0
		.amdhsa_exception_fp_ieee_div_zero 0
		.amdhsa_exception_fp_ieee_overflow 0
		.amdhsa_exception_fp_ieee_underflow 0
		.amdhsa_exception_fp_ieee_inexact 0
		.amdhsa_exception_int_div_zero 0
	.end_amdhsa_kernel
	.section	.text._ZN9rocsparseL27gebsr2gebsr_nnz_fast_kernelILi32ELi32EEEvii21rocsparse_index_base_PKiS3_iiiiS1_Piii,"axG",@progbits,_ZN9rocsparseL27gebsr2gebsr_nnz_fast_kernelILi32ELi32EEEvii21rocsparse_index_base_PKiS3_iiiiS1_Piii,comdat
.Lfunc_end6:
	.size	_ZN9rocsparseL27gebsr2gebsr_nnz_fast_kernelILi32ELi32EEEvii21rocsparse_index_base_PKiS3_iiiiS1_Piii, .Lfunc_end6-_ZN9rocsparseL27gebsr2gebsr_nnz_fast_kernelILi32ELi32EEEvii21rocsparse_index_base_PKiS3_iiiiS1_Piii
                                        ; -- End function
	.set _ZN9rocsparseL27gebsr2gebsr_nnz_fast_kernelILi32ELi32EEEvii21rocsparse_index_base_PKiS3_iiiiS1_Piii.num_vgpr, 15
	.set _ZN9rocsparseL27gebsr2gebsr_nnz_fast_kernelILi32ELi32EEEvii21rocsparse_index_base_PKiS3_iiiiS1_Piii.num_agpr, 0
	.set _ZN9rocsparseL27gebsr2gebsr_nnz_fast_kernelILi32ELi32EEEvii21rocsparse_index_base_PKiS3_iiiiS1_Piii.numbered_sgpr, 32
	.set _ZN9rocsparseL27gebsr2gebsr_nnz_fast_kernelILi32ELi32EEEvii21rocsparse_index_base_PKiS3_iiiiS1_Piii.num_named_barrier, 0
	.set _ZN9rocsparseL27gebsr2gebsr_nnz_fast_kernelILi32ELi32EEEvii21rocsparse_index_base_PKiS3_iiiiS1_Piii.private_seg_size, 0
	.set _ZN9rocsparseL27gebsr2gebsr_nnz_fast_kernelILi32ELi32EEEvii21rocsparse_index_base_PKiS3_iiiiS1_Piii.uses_vcc, 1
	.set _ZN9rocsparseL27gebsr2gebsr_nnz_fast_kernelILi32ELi32EEEvii21rocsparse_index_base_PKiS3_iiiiS1_Piii.uses_flat_scratch, 0
	.set _ZN9rocsparseL27gebsr2gebsr_nnz_fast_kernelILi32ELi32EEEvii21rocsparse_index_base_PKiS3_iiiiS1_Piii.has_dyn_sized_stack, 0
	.set _ZN9rocsparseL27gebsr2gebsr_nnz_fast_kernelILi32ELi32EEEvii21rocsparse_index_base_PKiS3_iiiiS1_Piii.has_recursion, 0
	.set _ZN9rocsparseL27gebsr2gebsr_nnz_fast_kernelILi32ELi32EEEvii21rocsparse_index_base_PKiS3_iiiiS1_Piii.has_indirect_call, 0
	.section	.AMDGPU.csdata,"",@progbits
; Kernel info:
; codeLenInByte = 948
; TotalNumSgprs: 36
; NumVgprs: 15
; ScratchSize: 0
; MemoryBound: 0
; FloatMode: 240
; IeeeMode: 1
; LDSByteSize: 0 bytes/workgroup (compile time only)
; SGPRBlocks: 4
; VGPRBlocks: 3
; NumSGPRsForWavesPerEU: 36
; NumVGPRsForWavesPerEU: 15
; Occupancy: 10
; WaveLimiterHint : 0
; COMPUTE_PGM_RSRC2:SCRATCH_EN: 0
; COMPUTE_PGM_RSRC2:USER_SGPR: 6
; COMPUTE_PGM_RSRC2:TRAP_HANDLER: 0
; COMPUTE_PGM_RSRC2:TGID_X_EN: 1
; COMPUTE_PGM_RSRC2:TGID_Y_EN: 0
; COMPUTE_PGM_RSRC2:TGID_Z_EN: 0
; COMPUTE_PGM_RSRC2:TIDIG_COMP_CNT: 0
	.section	.text._ZN9rocsparseL36gebsr2gebsr_compute_nnz_total_kernelILj1EEEviPKiPi,"axG",@progbits,_ZN9rocsparseL36gebsr2gebsr_compute_nnz_total_kernelILj1EEEviPKiPi,comdat
	.globl	_ZN9rocsparseL36gebsr2gebsr_compute_nnz_total_kernelILj1EEEviPKiPi ; -- Begin function _ZN9rocsparseL36gebsr2gebsr_compute_nnz_total_kernelILj1EEEviPKiPi
	.p2align	8
	.type	_ZN9rocsparseL36gebsr2gebsr_compute_nnz_total_kernelILj1EEEviPKiPi,@function
_ZN9rocsparseL36gebsr2gebsr_compute_nnz_total_kernelILj1EEEviPKiPi: ; @_ZN9rocsparseL36gebsr2gebsr_compute_nnz_total_kernelILj1EEEviPKiPi
; %bb.0:
	s_load_dword s0, s[4:5], 0x24
	s_waitcnt lgkmcnt(0)
	s_and_b32 s0, s0, 0xffff
	s_mul_i32 s6, s6, s0
	s_sub_i32 s0, 0, s6
	s_cmp_lg_u32 s0, 0
	s_cbranch_scc1 .LBB7_2
; %bb.1:
	s_load_dword s6, s[4:5], 0x0
	s_load_dwordx4 s[0:3], s[4:5], 0x8
	v_mov_b32_e32 v0, 0
	s_waitcnt lgkmcnt(0)
	s_ashr_i32 s7, s6, 31
	s_lshl_b64 s[4:5], s[6:7], 2
	s_add_u32 s4, s0, s4
	s_addc_u32 s5, s1, s5
	s_load_dword s6, s[4:5], 0x0
	s_load_dword s7, s[0:1], 0x0
	s_waitcnt lgkmcnt(0)
	s_sub_i32 s0, s6, s7
	v_mov_b32_e32 v1, s0
	global_store_dword v0, v1, s[2:3]
.LBB7_2:
	s_endpgm
	.section	.rodata,"a",@progbits
	.p2align	6, 0x0
	.amdhsa_kernel _ZN9rocsparseL36gebsr2gebsr_compute_nnz_total_kernelILj1EEEviPKiPi
		.amdhsa_group_segment_fixed_size 0
		.amdhsa_private_segment_fixed_size 0
		.amdhsa_kernarg_size 280
		.amdhsa_user_sgpr_count 6
		.amdhsa_user_sgpr_private_segment_buffer 1
		.amdhsa_user_sgpr_dispatch_ptr 0
		.amdhsa_user_sgpr_queue_ptr 0
		.amdhsa_user_sgpr_kernarg_segment_ptr 1
		.amdhsa_user_sgpr_dispatch_id 0
		.amdhsa_user_sgpr_flat_scratch_init 0
		.amdhsa_user_sgpr_private_segment_size 0
		.amdhsa_uses_dynamic_stack 0
		.amdhsa_system_sgpr_private_segment_wavefront_offset 0
		.amdhsa_system_sgpr_workgroup_id_x 1
		.amdhsa_system_sgpr_workgroup_id_y 0
		.amdhsa_system_sgpr_workgroup_id_z 0
		.amdhsa_system_sgpr_workgroup_info 0
		.amdhsa_system_vgpr_workitem_id 0
		.amdhsa_next_free_vgpr 2
		.amdhsa_next_free_sgpr 8
		.amdhsa_reserve_vcc 0
		.amdhsa_reserve_flat_scratch 0
		.amdhsa_float_round_mode_32 0
		.amdhsa_float_round_mode_16_64 0
		.amdhsa_float_denorm_mode_32 3
		.amdhsa_float_denorm_mode_16_64 3
		.amdhsa_dx10_clamp 1
		.amdhsa_ieee_mode 1
		.amdhsa_fp16_overflow 0
		.amdhsa_exception_fp_ieee_invalid_op 0
		.amdhsa_exception_fp_denorm_src 0
		.amdhsa_exception_fp_ieee_div_zero 0
		.amdhsa_exception_fp_ieee_overflow 0
		.amdhsa_exception_fp_ieee_underflow 0
		.amdhsa_exception_fp_ieee_inexact 0
		.amdhsa_exception_int_div_zero 0
	.end_amdhsa_kernel
	.section	.text._ZN9rocsparseL36gebsr2gebsr_compute_nnz_total_kernelILj1EEEviPKiPi,"axG",@progbits,_ZN9rocsparseL36gebsr2gebsr_compute_nnz_total_kernelILj1EEEviPKiPi,comdat
.Lfunc_end7:
	.size	_ZN9rocsparseL36gebsr2gebsr_compute_nnz_total_kernelILj1EEEviPKiPi, .Lfunc_end7-_ZN9rocsparseL36gebsr2gebsr_compute_nnz_total_kernelILj1EEEviPKiPi
                                        ; -- End function
	.set _ZN9rocsparseL36gebsr2gebsr_compute_nnz_total_kernelILj1EEEviPKiPi.num_vgpr, 2
	.set _ZN9rocsparseL36gebsr2gebsr_compute_nnz_total_kernelILj1EEEviPKiPi.num_agpr, 0
	.set _ZN9rocsparseL36gebsr2gebsr_compute_nnz_total_kernelILj1EEEviPKiPi.numbered_sgpr, 8
	.set _ZN9rocsparseL36gebsr2gebsr_compute_nnz_total_kernelILj1EEEviPKiPi.num_named_barrier, 0
	.set _ZN9rocsparseL36gebsr2gebsr_compute_nnz_total_kernelILj1EEEviPKiPi.private_seg_size, 0
	.set _ZN9rocsparseL36gebsr2gebsr_compute_nnz_total_kernelILj1EEEviPKiPi.uses_vcc, 0
	.set _ZN9rocsparseL36gebsr2gebsr_compute_nnz_total_kernelILj1EEEviPKiPi.uses_flat_scratch, 0
	.set _ZN9rocsparseL36gebsr2gebsr_compute_nnz_total_kernelILj1EEEviPKiPi.has_dyn_sized_stack, 0
	.set _ZN9rocsparseL36gebsr2gebsr_compute_nnz_total_kernelILj1EEEviPKiPi.has_recursion, 0
	.set _ZN9rocsparseL36gebsr2gebsr_compute_nnz_total_kernelILj1EEEviPKiPi.has_indirect_call, 0
	.section	.AMDGPU.csdata,"",@progbits
; Kernel info:
; codeLenInByte = 116
; TotalNumSgprs: 12
; NumVgprs: 2
; ScratchSize: 0
; MemoryBound: 0
; FloatMode: 240
; IeeeMode: 1
; LDSByteSize: 0 bytes/workgroup (compile time only)
; SGPRBlocks: 1
; VGPRBlocks: 0
; NumSGPRsForWavesPerEU: 12
; NumVGPRsForWavesPerEU: 2
; Occupancy: 10
; WaveLimiterHint : 0
; COMPUTE_PGM_RSRC2:SCRATCH_EN: 0
; COMPUTE_PGM_RSRC2:USER_SGPR: 6
; COMPUTE_PGM_RSRC2:TRAP_HANDLER: 0
; COMPUTE_PGM_RSRC2:TGID_X_EN: 1
; COMPUTE_PGM_RSRC2:TGID_Y_EN: 0
; COMPUTE_PGM_RSRC2:TGID_Z_EN: 0
; COMPUTE_PGM_RSRC2:TIDIG_COMP_CNT: 0
	.section	.text._ZN9rocsparseL23gebsr2gebsr_fast_kernelIL20rocsparse_direction_0ELi16ELi2EfEEvii21rocsparse_index_base_PKT2_PKiS7_iiiiS2_PS3_PiS9_ii,"axG",@progbits,_ZN9rocsparseL23gebsr2gebsr_fast_kernelIL20rocsparse_direction_0ELi16ELi2EfEEvii21rocsparse_index_base_PKT2_PKiS7_iiiiS2_PS3_PiS9_ii,comdat
	.globl	_ZN9rocsparseL23gebsr2gebsr_fast_kernelIL20rocsparse_direction_0ELi16ELi2EfEEvii21rocsparse_index_base_PKT2_PKiS7_iiiiS2_PS3_PiS9_ii ; -- Begin function _ZN9rocsparseL23gebsr2gebsr_fast_kernelIL20rocsparse_direction_0ELi16ELi2EfEEvii21rocsparse_index_base_PKT2_PKiS7_iiiiS2_PS3_PiS9_ii
	.p2align	8
	.type	_ZN9rocsparseL23gebsr2gebsr_fast_kernelIL20rocsparse_direction_0ELi16ELi2EfEEvii21rocsparse_index_base_PKT2_PKiS7_iiiiS2_PS3_PiS9_ii,@function
_ZN9rocsparseL23gebsr2gebsr_fast_kernelIL20rocsparse_direction_0ELi16ELi2EfEEvii21rocsparse_index_base_PKT2_PKiS7_iiiiS2_PS3_PiS9_ii: ; @_ZN9rocsparseL23gebsr2gebsr_fast_kernelIL20rocsparse_direction_0ELi16ELi2EfEEvii21rocsparse_index_base_PKT2_PKiS7_iiiiS2_PS3_PiS9_ii
; %bb.0:
	s_load_dwordx4 s[8:11], s[4:5], 0x28
	s_load_dword s33, s[4:5], 0x38
	s_load_dwordx2 s[12:13], s[4:5], 0x58
	v_lshrrev_b32_e32 v4, 1, v0
	s_lshl_b32 s2, s6, 3
	s_waitcnt lgkmcnt(0)
	s_abs_i32 s3, s8
	v_cvt_f32_u32_e32 v1, s3
	s_sub_i32 s0, 0, s3
	v_and_b32_e32 v0, 1, v0
	s_load_dword s6, s[4:5], 0x0
	s_load_dword s38, s[4:5], 0x8
	v_rcp_iflag_f32_e32 v1, v1
	v_cmp_gt_i32_e32 vcc, s12, v0
	v_mul_f32_e32 v1, 0x4f7ffffe, v1
	v_cvt_u32_f32_e32 v5, v1
	v_or_b32_e32 v1, s2, v4
	v_mul_lo_u32 v6, s0, v5
	v_mad_u64_u32 v[2:3], s[0:1], v1, s12, v[0:1]
	v_mul_hi_u32 v3, v5, v6
	v_sub_u32_e32 v6, 0, v2
	v_max_i32_e32 v7, v2, v6
	v_xor_b32_e32 v2, s8, v2
	v_add_u32_e32 v3, v5, v3
	v_mul_hi_u32 v3, v7, v3
	v_ashrrev_i32_e32 v11, 31, v2
	v_mov_b32_e32 v5, 0
	v_mov_b32_e32 v6, 0
	v_mul_lo_u32 v8, v3, s3
	v_add_u32_e32 v2, 1, v3
	v_sub_u32_e32 v7, v7, v8
	v_cmp_le_u32_e64 s[0:1], s3, v7
	v_cndmask_b32_e64 v2, v3, v2, s[0:1]
	v_subrev_u32_e32 v3, s3, v7
	v_cndmask_b32_e64 v3, v7, v3, s[0:1]
	v_add_u32_e32 v7, 1, v2
	v_cmp_le_u32_e64 s[0:1], s3, v3
	v_cndmask_b32_e64 v2, v2, v7, s[0:1]
	v_xor_b32_e32 v12, v2, v11
	v_sub_u32_e32 v2, v12, v11
	s_waitcnt lgkmcnt(0)
	v_cmp_gt_i32_e64 s[0:1], s6, v2
	s_and_b64 s[6:7], vcc, s[0:1]
	v_mov_b32_e32 v7, 0
	s_and_saveexec_b64 s[0:1], s[6:7]
	s_cbranch_execnz .LBB8_3
; %bb.1:
	s_or_b64 exec, exec, s[0:1]
	v_cmp_gt_i32_e32 vcc, s10, v1
	s_and_saveexec_b64 s[0:1], vcc
	s_cbranch_execnz .LBB8_4
.LBB8_2:
	s_or_b64 exec, exec, s[0:1]
	s_cmp_lt_i32 s11, 1
	s_cbranch_scc0 .LBB8_5
	s_branch .LBB8_31
.LBB8_3:
	s_load_dwordx2 s[6:7], s[4:5], 0x18
	v_ashrrev_i32_e32 v3, 31, v2
	v_lshlrev_b64 v[2:3], 2, v[2:3]
	s_waitcnt lgkmcnt(0)
	v_mov_b32_e32 v6, s7
	v_add_co_u32_e32 v2, vcc, s6, v2
	v_addc_co_u32_e32 v3, vcc, v6, v3, vcc
	global_load_dwordx2 v[2:3], v[2:3], off
	s_waitcnt vmcnt(0)
	v_subrev_u32_e32 v7, s38, v2
	v_subrev_u32_e32 v6, s38, v3
	s_or_b64 exec, exec, s[0:1]
	v_cmp_gt_i32_e32 vcc, s10, v1
	s_and_saveexec_b64 s[0:1], vcc
	s_cbranch_execz .LBB8_2
.LBB8_4:
	s_load_dwordx2 s[6:7], s[4:5], 0x48
	v_ashrrev_i32_e32 v2, 31, v1
	v_lshlrev_b64 v[1:2], 2, v[1:2]
	s_waitcnt lgkmcnt(0)
	v_mov_b32_e32 v3, s7
	v_add_co_u32_e32 v1, vcc, s6, v1
	v_addc_co_u32_e32 v2, vcc, v3, v2, vcc
	global_load_dword v1, v[1:2], off
	s_waitcnt vmcnt(0)
	v_subrev_u32_e32 v5, s33, v1
	s_or_b64 exec, exec, s[0:1]
	s_cmp_lt_i32 s11, 1
	s_cbranch_scc1 .LBB8_31
.LBB8_5:
	s_cmp_gt_i32 s9, 0
	s_cselect_b64 s[20:21], -1, 0
	s_abs_i32 s10, s13
	v_cvt_f32_u32_e32 v1, s10
	s_sub_i32 s3, 0, s10
	s_load_dwordx2 s[6:7], s[4:5], 0x50
	s_load_dwordx2 s[14:15], s[4:5], 0x40
	;; [unrolled: 1-line block ×4, first 2 shown]
	v_add_u32_e32 v4, s2, v4
	v_rcp_iflag_f32_e32 v1, v1
	v_cmp_ne_u32_e64 s[0:1], 0, v0
	v_add_u32_e32 v8, -1, v5
	s_ashr_i32 s39, s13, 31
	v_mul_f32_e32 v1, 0x4f7ffffe, v1
	v_cvt_u32_f32_e32 v3, v1
	v_mbcnt_lo_u32_b32 v1, -1, 0
	v_mbcnt_hi_u32_b32 v9, -1, v1
	v_lshl_or_b32 v9, v9, 2, 4
	v_mul_lo_u32 v2, s3, v3
	v_sub_u32_e32 v11, v11, v12
	s_mul_i32 s40, s9, s8
	s_mov_b64 s[4:5], 0
	v_mul_hi_u32 v10, v3, v2
	v_mad_u64_u32 v[1:2], s[2:3], s12, v4, v[0:1]
	v_cndmask_b32_e64 v2, 0, 1, s[20:21]
	v_add_u32_e32 v10, v3, v10
	v_mov_b32_e32 v4, 0
	v_cmp_ne_u32_e64 s[2:3], 1, v2
	v_mov_b32_e32 v12, 0
	s_branch .LBB8_7
.LBB8_6:                                ;   in Loop: Header=BB8_7 Depth=1
	s_or_b64 exec, exec, s[20:21]
	s_waitcnt lgkmcnt(0)
	v_add_u32_e32 v4, 1, v13
	v_cmp_le_i32_e32 vcc, s11, v4
	s_or_b64 s[4:5], vcc, s[4:5]
	s_andn2_b64 exec, exec, s[4:5]
	s_cbranch_execz .LBB8_31
.LBB8_7:                                ; =>This Loop Header: Depth=1
                                        ;     Child Loop BB8_11 Depth 2
                                        ;       Child Loop BB8_13 Depth 3
                                        ;     Child Loop BB8_21 Depth 2
                                        ;       Child Loop BB8_24 Depth 3
	v_cmp_lt_i32_e32 vcc, v7, v6
	v_mov_b32_e32 v13, s11
	s_and_saveexec_b64 s[20:21], vcc
	s_cbranch_execz .LBB8_16
; %bb.8:                                ;   in Loop: Header=BB8_7 Depth=1
	s_mov_b64 s[22:23], 0
	v_mov_b32_e32 v13, s11
	v_mov_b32_e32 v2, v7
	s_branch .LBB8_11
.LBB8_9:                                ;   in Loop: Header=BB8_11 Depth=2
	s_mov_b64 s[24:25], 0
.LBB8_10:                               ;   in Loop: Header=BB8_11 Depth=2
	v_add_u32_e32 v2, 1, v2
	v_cmp_ge_i32_e32 vcc, v2, v6
	s_or_b64 s[24:25], s[24:25], vcc
	s_and_b64 s[24:25], exec, s[24:25]
	s_or_b64 s[22:23], s[24:25], s[22:23]
	s_andn2_b64 exec, exec, s[22:23]
	s_cbranch_execz .LBB8_15
.LBB8_11:                               ;   Parent Loop BB8_7 Depth=1
                                        ; =>  This Loop Header: Depth=2
                                        ;       Child Loop BB8_13 Depth 3
	s_and_b64 vcc, exec, s[2:3]
	s_cbranch_vccnz .LBB8_9
; %bb.12:                               ;   in Loop: Header=BB8_11 Depth=2
	v_ashrrev_i32_e32 v3, 31, v2
	v_lshlrev_b64 v[14:15], 2, v[2:3]
	s_waitcnt lgkmcnt(0)
	v_mov_b32_e32 v3, s19
	v_add_co_u32_e32 v14, vcc, s18, v14
	v_addc_co_u32_e32 v15, vcc, v3, v15, vcc
	global_load_dword v3, v[14:15], off
	s_mov_b32 s30, 0
	s_mov_b64 s[28:29], 0
	s_mov_b64 s[26:27], 0
                                        ; implicit-def: $sgpr24_sgpr25
	s_waitcnt vmcnt(0)
	v_subrev_u32_e32 v3, s38, v3
	v_mul_lo_u32 v3, v3, s9
.LBB8_13:                               ;   Parent Loop BB8_7 Depth=1
                                        ;     Parent Loop BB8_11 Depth=2
                                        ; =>    This Inner Loop Header: Depth=3
	v_add_u32_e32 v14, s30, v3
	v_sub_u32_e32 v16, 0, v14
	v_ashrrev_i32_e32 v15, 31, v14
	v_max_i32_e32 v14, v14, v16
	v_mul_hi_u32 v16, v14, v10
	v_xor_b32_e32 v15, s39, v15
	s_add_i32 s30, s30, 1
	v_mul_lo_u32 v17, v16, s10
	v_add_u32_e32 v18, 1, v16
	v_sub_u32_e32 v14, v14, v17
	v_cmp_le_u32_e32 vcc, s10, v14
	v_subrev_u32_e32 v17, s10, v14
	v_cndmask_b32_e32 v16, v16, v18, vcc
	v_cndmask_b32_e32 v14, v14, v17, vcc
	v_add_u32_e32 v17, 1, v16
	v_cmp_le_u32_e32 vcc, s10, v14
	v_cndmask_b32_e32 v14, v16, v17, vcc
	v_xor_b32_e32 v14, v14, v15
	v_sub_u32_e32 v14, v14, v15
	v_cmp_ge_i32_e32 vcc, v14, v4
	s_or_b64 s[28:29], vcc, s[28:29]
	s_cmp_ge_i32 s30, s9
	s_cselect_b64 s[34:35], -1, 0
	s_or_b64 s[34:35], vcc, s[34:35]
	s_and_b64 s[34:35], exec, s[34:35]
	s_or_b64 s[26:27], s[34:35], s[26:27]
	s_andn2_b64 s[24:25], s[24:25], exec
	s_and_b64 s[34:35], s[28:29], exec
	v_cndmask_b32_e32 v13, v13, v14, vcc
	v_cndmask_b32_e32 v7, v7, v2, vcc
	s_or_b64 s[24:25], s[24:25], s[34:35]
	s_andn2_b64 exec, exec, s[26:27]
	s_cbranch_execnz .LBB8_13
; %bb.14:                               ;   in Loop: Header=BB8_11 Depth=2
	s_or_b64 exec, exec, s[26:27]
	s_branch .LBB8_10
.LBB8_15:                               ;   in Loop: Header=BB8_7 Depth=1
	s_or_b64 exec, exec, s[22:23]
.LBB8_16:                               ;   in Loop: Header=BB8_7 Depth=1
	s_or_b64 exec, exec, s[20:21]
	v_mov_b32_dpp v2, v13 row_shr:1 row_mask:0xf bank_mask:0xf
	v_min_i32_e32 v2, v2, v13
	v_cmp_gt_i32_e32 vcc, s11, v2
	s_and_b64 s[22:23], s[0:1], vcc
	s_and_saveexec_b64 s[20:21], s[22:23]
	s_cbranch_execz .LBB8_18
; %bb.17:                               ;   in Loop: Header=BB8_7 Depth=1
	v_add_u32_e32 v3, v12, v5
	v_ashrrev_i32_e32 v4, 31, v3
	v_lshlrev_b64 v[3:4], 2, v[3:4]
	v_add_u32_e32 v13, 1, v12
	s_waitcnt lgkmcnt(0)
	v_mov_b32_e32 v12, s7
	v_add_co_u32_e32 v3, vcc, s6, v3
	v_addc_co_u32_e32 v4, vcc, v12, v4, vcc
	v_add_u32_e32 v12, s33, v2
	global_store_dword v[3:4], v12, off
	v_mov_b32_e32 v12, v13
.LBB8_18:                               ;   in Loop: Header=BB8_7 Depth=1
	s_or_b64 exec, exec, s[20:21]
	ds_bpermute_b32 v13, v9, v2
	ds_bpermute_b32 v12, v9, v12
	v_cmp_lt_i32_e32 vcc, v7, v6
	s_and_saveexec_b64 s[20:21], vcc
	s_cbranch_execz .LBB8_6
; %bb.19:                               ;   in Loop: Header=BB8_7 Depth=1
	s_waitcnt lgkmcnt(0)
	v_add_u32_e32 v2, v8, v12
	v_mad_u64_u32 v[2:3], s[22:23], v2, s12, v[0:1]
	v_add_u32_e32 v3, v11, v7
	v_mul_lo_u32 v15, v13, s13
	v_mad_u64_u32 v[3:4], s[22:23], s8, v3, v[1:2]
	v_mul_lo_u32 v14, v2, s13
	s_mov_b64 s[22:23], 0
	v_mul_lo_u32 v16, s9, v3
	v_mov_b32_e32 v2, v7
	s_branch .LBB8_21
.LBB8_20:                               ;   in Loop: Header=BB8_21 Depth=2
	s_or_b64 exec, exec, s[28:29]
	s_and_b64 s[24:25], exec, s[24:25]
	s_or_b64 s[22:23], s[24:25], s[22:23]
	s_andn2_b64 exec, exec, s[22:23]
	s_cbranch_execz .LBB8_6
.LBB8_21:                               ;   Parent Loop BB8_7 Depth=1
                                        ; =>  This Loop Header: Depth=2
                                        ;       Child Loop BB8_24 Depth 3
	s_mov_b64 s[24:25], -1
	s_and_b64 vcc, exec, s[2:3]
	s_mov_b64 s[26:27], -1
	s_cbranch_vccnz .LBB8_29
; %bb.22:                               ;   in Loop: Header=BB8_21 Depth=2
	v_ashrrev_i32_e32 v3, 31, v2
	v_lshlrev_b64 v[3:4], 2, v[2:3]
	v_mov_b32_e32 v17, s19
	v_add_co_u32_e32 v3, vcc, s18, v3
	v_addc_co_u32_e32 v4, vcc, v17, v4, vcc
	global_load_dword v3, v[3:4], off
	s_mov_b64 s[28:29], 0
	s_mov_b32 s41, s9
                                        ; implicit-def: $sgpr26_sgpr27
	s_waitcnt vmcnt(0)
	v_subrev_u32_e32 v3, s38, v3
	v_mul_lo_u32 v17, v3, s9
	v_mov_b32_e32 v3, v16
	s_branch .LBB8_24
.LBB8_23:                               ;   in Loop: Header=BB8_24 Depth=3
	s_or_b64 exec, exec, s[36:37]
	s_xor_b64 s[34:35], s[34:35], -1
	s_and_b64 s[30:31], exec, s[30:31]
	s_or_b64 s[28:29], s[30:31], s[28:29]
	s_andn2_b64 s[26:27], s[26:27], exec
	s_and_b64 s[30:31], s[34:35], exec
	s_or_b64 s[26:27], s[26:27], s[30:31]
	s_andn2_b64 exec, exec, s[28:29]
	s_cbranch_execz .LBB8_28
.LBB8_24:                               ;   Parent Loop BB8_7 Depth=1
                                        ;     Parent Loop BB8_21 Depth=2
                                        ; =>    This Inner Loop Header: Depth=3
	v_sub_u32_e32 v4, 0, v17
	v_max_i32_e32 v4, v17, v4
	v_mul_hi_u32 v18, v4, v10
	v_ashrrev_i32_e32 v20, 31, v17
	v_xor_b32_e32 v20, s39, v20
	v_mul_lo_u32 v19, v18, s10
	v_add_u32_e32 v21, 1, v18
	v_sub_u32_e32 v4, v4, v19
	v_cmp_le_u32_e32 vcc, s10, v4
	v_subrev_u32_e32 v19, s10, v4
	v_cndmask_b32_e32 v18, v18, v21, vcc
	v_cndmask_b32_e32 v4, v4, v19, vcc
	v_add_u32_e32 v19, 1, v18
	v_cmp_le_u32_e32 vcc, s10, v4
	v_cndmask_b32_e32 v4, v18, v19, vcc
	v_xor_b32_e32 v4, v4, v20
	v_sub_u32_e32 v18, v4, v20
	v_cmp_eq_u32_e32 vcc, v18, v13
	s_and_saveexec_b64 s[30:31], vcc
	s_cbranch_execz .LBB8_26
; %bb.25:                               ;   in Loop: Header=BB8_24 Depth=3
	v_ashrrev_i32_e32 v4, 31, v3
	v_lshlrev_b64 v[19:20], 2, v[3:4]
	v_mov_b32_e32 v4, s17
	v_add_co_u32_e32 v19, vcc, s16, v19
	v_addc_co_u32_e32 v20, vcc, v4, v20, vcc
	global_load_dword v4, v[19:20], off
	v_sub_u32_e32 v19, v17, v15
	v_add_u32_e32 v19, v19, v14
	v_ashrrev_i32_e32 v20, 31, v19
	v_lshlrev_b64 v[19:20], 2, v[19:20]
	v_mov_b32_e32 v21, s15
	v_add_co_u32_e32 v19, vcc, s14, v19
	v_addc_co_u32_e32 v20, vcc, v21, v20, vcc
	s_waitcnt vmcnt(0)
	global_store_dword v[19:20], v4, off
.LBB8_26:                               ;   in Loop: Header=BB8_24 Depth=3
	s_or_b64 exec, exec, s[30:31]
	v_cmp_le_i32_e32 vcc, v18, v13
	s_mov_b64 s[30:31], -1
	s_mov_b64 s[34:35], -1
	s_and_saveexec_b64 s[36:37], vcc
	s_cbranch_execz .LBB8_23
; %bb.27:                               ;   in Loop: Header=BB8_24 Depth=3
	s_add_i32 s41, s41, -1
	s_cmp_eq_u32 s41, 0
	s_cselect_b64 s[30:31], -1, 0
	v_add_u32_e32 v17, 1, v17
	v_add_u32_e32 v3, 1, v3
	s_xor_b64 s[34:35], exec, -1
	s_orn2_b64 s[30:31], s[30:31], exec
	s_branch .LBB8_23
.LBB8_28:                               ;   in Loop: Header=BB8_21 Depth=2
	s_or_b64 exec, exec, s[28:29]
.LBB8_29:                               ;   in Loop: Header=BB8_21 Depth=2
	s_and_saveexec_b64 s[28:29], s[26:27]
	s_cbranch_execz .LBB8_20
; %bb.30:                               ;   in Loop: Header=BB8_21 Depth=2
	v_add_u32_e32 v2, 1, v2
	v_cmp_ge_i32_e32 vcc, v2, v6
	v_add_u32_e32 v16, s40, v16
	s_orn2_b64 s[24:25], vcc, exec
	s_branch .LBB8_20
.LBB8_31:
	s_endpgm
	.section	.rodata,"a",@progbits
	.p2align	6, 0x0
	.amdhsa_kernel _ZN9rocsparseL23gebsr2gebsr_fast_kernelIL20rocsparse_direction_0ELi16ELi2EfEEvii21rocsparse_index_base_PKT2_PKiS7_iiiiS2_PS3_PiS9_ii
		.amdhsa_group_segment_fixed_size 0
		.amdhsa_private_segment_fixed_size 0
		.amdhsa_kernarg_size 96
		.amdhsa_user_sgpr_count 6
		.amdhsa_user_sgpr_private_segment_buffer 1
		.amdhsa_user_sgpr_dispatch_ptr 0
		.amdhsa_user_sgpr_queue_ptr 0
		.amdhsa_user_sgpr_kernarg_segment_ptr 1
		.amdhsa_user_sgpr_dispatch_id 0
		.amdhsa_user_sgpr_flat_scratch_init 0
		.amdhsa_user_sgpr_private_segment_size 0
		.amdhsa_uses_dynamic_stack 0
		.amdhsa_system_sgpr_private_segment_wavefront_offset 0
		.amdhsa_system_sgpr_workgroup_id_x 1
		.amdhsa_system_sgpr_workgroup_id_y 0
		.amdhsa_system_sgpr_workgroup_id_z 0
		.amdhsa_system_sgpr_workgroup_info 0
		.amdhsa_system_vgpr_workitem_id 0
		.amdhsa_next_free_vgpr 22
		.amdhsa_next_free_sgpr 42
		.amdhsa_reserve_vcc 1
		.amdhsa_reserve_flat_scratch 0
		.amdhsa_float_round_mode_32 0
		.amdhsa_float_round_mode_16_64 0
		.amdhsa_float_denorm_mode_32 3
		.amdhsa_float_denorm_mode_16_64 3
		.amdhsa_dx10_clamp 1
		.amdhsa_ieee_mode 1
		.amdhsa_fp16_overflow 0
		.amdhsa_exception_fp_ieee_invalid_op 0
		.amdhsa_exception_fp_denorm_src 0
		.amdhsa_exception_fp_ieee_div_zero 0
		.amdhsa_exception_fp_ieee_overflow 0
		.amdhsa_exception_fp_ieee_underflow 0
		.amdhsa_exception_fp_ieee_inexact 0
		.amdhsa_exception_int_div_zero 0
	.end_amdhsa_kernel
	.section	.text._ZN9rocsparseL23gebsr2gebsr_fast_kernelIL20rocsparse_direction_0ELi16ELi2EfEEvii21rocsparse_index_base_PKT2_PKiS7_iiiiS2_PS3_PiS9_ii,"axG",@progbits,_ZN9rocsparseL23gebsr2gebsr_fast_kernelIL20rocsparse_direction_0ELi16ELi2EfEEvii21rocsparse_index_base_PKT2_PKiS7_iiiiS2_PS3_PiS9_ii,comdat
.Lfunc_end8:
	.size	_ZN9rocsparseL23gebsr2gebsr_fast_kernelIL20rocsparse_direction_0ELi16ELi2EfEEvii21rocsparse_index_base_PKT2_PKiS7_iiiiS2_PS3_PiS9_ii, .Lfunc_end8-_ZN9rocsparseL23gebsr2gebsr_fast_kernelIL20rocsparse_direction_0ELi16ELi2EfEEvii21rocsparse_index_base_PKT2_PKiS7_iiiiS2_PS3_PiS9_ii
                                        ; -- End function
	.set _ZN9rocsparseL23gebsr2gebsr_fast_kernelIL20rocsparse_direction_0ELi16ELi2EfEEvii21rocsparse_index_base_PKT2_PKiS7_iiiiS2_PS3_PiS9_ii.num_vgpr, 22
	.set _ZN9rocsparseL23gebsr2gebsr_fast_kernelIL20rocsparse_direction_0ELi16ELi2EfEEvii21rocsparse_index_base_PKT2_PKiS7_iiiiS2_PS3_PiS9_ii.num_agpr, 0
	.set _ZN9rocsparseL23gebsr2gebsr_fast_kernelIL20rocsparse_direction_0ELi16ELi2EfEEvii21rocsparse_index_base_PKT2_PKiS7_iiiiS2_PS3_PiS9_ii.numbered_sgpr, 42
	.set _ZN9rocsparseL23gebsr2gebsr_fast_kernelIL20rocsparse_direction_0ELi16ELi2EfEEvii21rocsparse_index_base_PKT2_PKiS7_iiiiS2_PS3_PiS9_ii.num_named_barrier, 0
	.set _ZN9rocsparseL23gebsr2gebsr_fast_kernelIL20rocsparse_direction_0ELi16ELi2EfEEvii21rocsparse_index_base_PKT2_PKiS7_iiiiS2_PS3_PiS9_ii.private_seg_size, 0
	.set _ZN9rocsparseL23gebsr2gebsr_fast_kernelIL20rocsparse_direction_0ELi16ELi2EfEEvii21rocsparse_index_base_PKT2_PKiS7_iiiiS2_PS3_PiS9_ii.uses_vcc, 1
	.set _ZN9rocsparseL23gebsr2gebsr_fast_kernelIL20rocsparse_direction_0ELi16ELi2EfEEvii21rocsparse_index_base_PKT2_PKiS7_iiiiS2_PS3_PiS9_ii.uses_flat_scratch, 0
	.set _ZN9rocsparseL23gebsr2gebsr_fast_kernelIL20rocsparse_direction_0ELi16ELi2EfEEvii21rocsparse_index_base_PKT2_PKiS7_iiiiS2_PS3_PiS9_ii.has_dyn_sized_stack, 0
	.set _ZN9rocsparseL23gebsr2gebsr_fast_kernelIL20rocsparse_direction_0ELi16ELi2EfEEvii21rocsparse_index_base_PKT2_PKiS7_iiiiS2_PS3_PiS9_ii.has_recursion, 0
	.set _ZN9rocsparseL23gebsr2gebsr_fast_kernelIL20rocsparse_direction_0ELi16ELi2EfEEvii21rocsparse_index_base_PKT2_PKiS7_iiiiS2_PS3_PiS9_ii.has_indirect_call, 0
	.section	.AMDGPU.csdata,"",@progbits
; Kernel info:
; codeLenInByte = 1488
; TotalNumSgprs: 46
; NumVgprs: 22
; ScratchSize: 0
; MemoryBound: 0
; FloatMode: 240
; IeeeMode: 1
; LDSByteSize: 0 bytes/workgroup (compile time only)
; SGPRBlocks: 5
; VGPRBlocks: 5
; NumSGPRsForWavesPerEU: 46
; NumVGPRsForWavesPerEU: 22
; Occupancy: 10
; WaveLimiterHint : 0
; COMPUTE_PGM_RSRC2:SCRATCH_EN: 0
; COMPUTE_PGM_RSRC2:USER_SGPR: 6
; COMPUTE_PGM_RSRC2:TRAP_HANDLER: 0
; COMPUTE_PGM_RSRC2:TGID_X_EN: 1
; COMPUTE_PGM_RSRC2:TGID_Y_EN: 0
; COMPUTE_PGM_RSRC2:TGID_Z_EN: 0
; COMPUTE_PGM_RSRC2:TIDIG_COMP_CNT: 0
	.section	.text._ZN9rocsparseL23gebsr2gebsr_fast_kernelIL20rocsparse_direction_0ELi16ELi4EfEEvii21rocsparse_index_base_PKT2_PKiS7_iiiiS2_PS3_PiS9_ii,"axG",@progbits,_ZN9rocsparseL23gebsr2gebsr_fast_kernelIL20rocsparse_direction_0ELi16ELi4EfEEvii21rocsparse_index_base_PKT2_PKiS7_iiiiS2_PS3_PiS9_ii,comdat
	.globl	_ZN9rocsparseL23gebsr2gebsr_fast_kernelIL20rocsparse_direction_0ELi16ELi4EfEEvii21rocsparse_index_base_PKT2_PKiS7_iiiiS2_PS3_PiS9_ii ; -- Begin function _ZN9rocsparseL23gebsr2gebsr_fast_kernelIL20rocsparse_direction_0ELi16ELi4EfEEvii21rocsparse_index_base_PKT2_PKiS7_iiiiS2_PS3_PiS9_ii
	.p2align	8
	.type	_ZN9rocsparseL23gebsr2gebsr_fast_kernelIL20rocsparse_direction_0ELi16ELi4EfEEvii21rocsparse_index_base_PKT2_PKiS7_iiiiS2_PS3_PiS9_ii,@function
_ZN9rocsparseL23gebsr2gebsr_fast_kernelIL20rocsparse_direction_0ELi16ELi4EfEEvii21rocsparse_index_base_PKT2_PKiS7_iiiiS2_PS3_PiS9_ii: ; @_ZN9rocsparseL23gebsr2gebsr_fast_kernelIL20rocsparse_direction_0ELi16ELi4EfEEvii21rocsparse_index_base_PKT2_PKiS7_iiiiS2_PS3_PiS9_ii
; %bb.0:
	s_load_dwordx4 s[8:11], s[4:5], 0x28
	s_load_dword s33, s[4:5], 0x38
	s_load_dwordx2 s[12:13], s[4:5], 0x58
	v_lshrrev_b32_e32 v4, 2, v0
	s_lshl_b32 s2, s6, 2
	s_waitcnt lgkmcnt(0)
	s_abs_i32 s3, s8
	v_cvt_f32_u32_e32 v1, s3
	s_sub_i32 s0, 0, s3
	v_and_b32_e32 v0, 3, v0
	s_load_dword s6, s[4:5], 0x0
	s_load_dword s38, s[4:5], 0x8
	v_rcp_iflag_f32_e32 v1, v1
	v_cmp_gt_i32_e32 vcc, s12, v0
	v_mul_f32_e32 v1, 0x4f7ffffe, v1
	v_cvt_u32_f32_e32 v5, v1
	v_or_b32_e32 v1, s2, v4
	v_mul_lo_u32 v6, s0, v5
	v_mad_u64_u32 v[2:3], s[0:1], v1, s12, v[0:1]
	v_mul_hi_u32 v3, v5, v6
	v_sub_u32_e32 v6, 0, v2
	v_max_i32_e32 v7, v2, v6
	v_xor_b32_e32 v2, s8, v2
	v_add_u32_e32 v3, v5, v3
	v_mul_hi_u32 v3, v7, v3
	v_ashrrev_i32_e32 v11, 31, v2
	v_mov_b32_e32 v5, 0
	v_mov_b32_e32 v6, 0
	v_mul_lo_u32 v8, v3, s3
	v_add_u32_e32 v2, 1, v3
	v_sub_u32_e32 v7, v7, v8
	v_cmp_le_u32_e64 s[0:1], s3, v7
	v_cndmask_b32_e64 v2, v3, v2, s[0:1]
	v_subrev_u32_e32 v3, s3, v7
	v_cndmask_b32_e64 v3, v7, v3, s[0:1]
	v_add_u32_e32 v7, 1, v2
	v_cmp_le_u32_e64 s[0:1], s3, v3
	v_cndmask_b32_e64 v2, v2, v7, s[0:1]
	v_xor_b32_e32 v12, v2, v11
	v_sub_u32_e32 v2, v12, v11
	s_waitcnt lgkmcnt(0)
	v_cmp_gt_i32_e64 s[0:1], s6, v2
	s_and_b64 s[6:7], vcc, s[0:1]
	v_mov_b32_e32 v7, 0
	s_and_saveexec_b64 s[0:1], s[6:7]
	s_cbranch_execnz .LBB9_3
; %bb.1:
	s_or_b64 exec, exec, s[0:1]
	v_cmp_gt_i32_e32 vcc, s10, v1
	s_and_saveexec_b64 s[0:1], vcc
	s_cbranch_execnz .LBB9_4
.LBB9_2:
	s_or_b64 exec, exec, s[0:1]
	s_cmp_lt_i32 s11, 1
	s_cbranch_scc0 .LBB9_5
	s_branch .LBB9_31
.LBB9_3:
	s_load_dwordx2 s[6:7], s[4:5], 0x18
	v_ashrrev_i32_e32 v3, 31, v2
	v_lshlrev_b64 v[2:3], 2, v[2:3]
	s_waitcnt lgkmcnt(0)
	v_mov_b32_e32 v6, s7
	v_add_co_u32_e32 v2, vcc, s6, v2
	v_addc_co_u32_e32 v3, vcc, v6, v3, vcc
	global_load_dwordx2 v[2:3], v[2:3], off
	s_waitcnt vmcnt(0)
	v_subrev_u32_e32 v7, s38, v2
	v_subrev_u32_e32 v6, s38, v3
	s_or_b64 exec, exec, s[0:1]
	v_cmp_gt_i32_e32 vcc, s10, v1
	s_and_saveexec_b64 s[0:1], vcc
	s_cbranch_execz .LBB9_2
.LBB9_4:
	s_load_dwordx2 s[6:7], s[4:5], 0x48
	v_ashrrev_i32_e32 v2, 31, v1
	v_lshlrev_b64 v[1:2], 2, v[1:2]
	s_waitcnt lgkmcnt(0)
	v_mov_b32_e32 v3, s7
	v_add_co_u32_e32 v1, vcc, s6, v1
	v_addc_co_u32_e32 v2, vcc, v3, v2, vcc
	global_load_dword v1, v[1:2], off
	s_waitcnt vmcnt(0)
	v_subrev_u32_e32 v5, s33, v1
	s_or_b64 exec, exec, s[0:1]
	s_cmp_lt_i32 s11, 1
	s_cbranch_scc1 .LBB9_31
.LBB9_5:
	s_cmp_gt_i32 s9, 0
	s_cselect_b64 s[20:21], -1, 0
	s_abs_i32 s10, s13
	v_cvt_f32_u32_e32 v1, s10
	s_sub_i32 s3, 0, s10
	s_load_dwordx2 s[6:7], s[4:5], 0x50
	s_load_dwordx2 s[14:15], s[4:5], 0x40
	;; [unrolled: 1-line block ×4, first 2 shown]
	v_add_u32_e32 v4, s2, v4
	v_rcp_iflag_f32_e32 v1, v1
	v_cmp_eq_u32_e64 s[0:1], 3, v0
	v_add_u32_e32 v8, -1, v5
	s_ashr_i32 s39, s13, 31
	v_mul_f32_e32 v1, 0x4f7ffffe, v1
	v_cvt_u32_f32_e32 v3, v1
	v_mbcnt_lo_u32_b32 v1, -1, 0
	v_mbcnt_hi_u32_b32 v9, -1, v1
	v_lshl_or_b32 v9, v9, 2, 12
	v_mul_lo_u32 v2, s3, v3
	v_sub_u32_e32 v11, v11, v12
	s_mul_i32 s40, s9, s8
	s_mov_b64 s[4:5], 0
	v_mul_hi_u32 v10, v3, v2
	v_mad_u64_u32 v[1:2], s[2:3], s12, v4, v[0:1]
	v_cndmask_b32_e64 v2, 0, 1, s[20:21]
	v_add_u32_e32 v10, v3, v10
	v_mov_b32_e32 v4, 0
	v_cmp_ne_u32_e64 s[2:3], 1, v2
	v_mov_b32_e32 v12, 0
	s_branch .LBB9_7
.LBB9_6:                                ;   in Loop: Header=BB9_7 Depth=1
	s_or_b64 exec, exec, s[20:21]
	s_waitcnt lgkmcnt(0)
	v_add_u32_e32 v4, 1, v13
	v_cmp_le_i32_e32 vcc, s11, v4
	s_or_b64 s[4:5], vcc, s[4:5]
	s_andn2_b64 exec, exec, s[4:5]
	s_cbranch_execz .LBB9_31
.LBB9_7:                                ; =>This Loop Header: Depth=1
                                        ;     Child Loop BB9_11 Depth 2
                                        ;       Child Loop BB9_13 Depth 3
                                        ;     Child Loop BB9_21 Depth 2
                                        ;       Child Loop BB9_24 Depth 3
	v_cmp_lt_i32_e32 vcc, v7, v6
	v_mov_b32_e32 v13, s11
	s_and_saveexec_b64 s[20:21], vcc
	s_cbranch_execz .LBB9_16
; %bb.8:                                ;   in Loop: Header=BB9_7 Depth=1
	s_mov_b64 s[22:23], 0
	v_mov_b32_e32 v13, s11
	v_mov_b32_e32 v2, v7
	s_branch .LBB9_11
.LBB9_9:                                ;   in Loop: Header=BB9_11 Depth=2
	s_mov_b64 s[24:25], 0
.LBB9_10:                               ;   in Loop: Header=BB9_11 Depth=2
	v_add_u32_e32 v2, 1, v2
	v_cmp_ge_i32_e32 vcc, v2, v6
	s_or_b64 s[24:25], s[24:25], vcc
	s_and_b64 s[24:25], exec, s[24:25]
	s_or_b64 s[22:23], s[24:25], s[22:23]
	s_andn2_b64 exec, exec, s[22:23]
	s_cbranch_execz .LBB9_15
.LBB9_11:                               ;   Parent Loop BB9_7 Depth=1
                                        ; =>  This Loop Header: Depth=2
                                        ;       Child Loop BB9_13 Depth 3
	s_and_b64 vcc, exec, s[2:3]
	s_cbranch_vccnz .LBB9_9
; %bb.12:                               ;   in Loop: Header=BB9_11 Depth=2
	v_ashrrev_i32_e32 v3, 31, v2
	v_lshlrev_b64 v[14:15], 2, v[2:3]
	s_waitcnt lgkmcnt(0)
	v_mov_b32_e32 v3, s19
	v_add_co_u32_e32 v14, vcc, s18, v14
	v_addc_co_u32_e32 v15, vcc, v3, v15, vcc
	global_load_dword v3, v[14:15], off
	s_mov_b32 s30, 0
	s_mov_b64 s[28:29], 0
	s_mov_b64 s[26:27], 0
                                        ; implicit-def: $sgpr24_sgpr25
	s_waitcnt vmcnt(0)
	v_subrev_u32_e32 v3, s38, v3
	v_mul_lo_u32 v3, v3, s9
.LBB9_13:                               ;   Parent Loop BB9_7 Depth=1
                                        ;     Parent Loop BB9_11 Depth=2
                                        ; =>    This Inner Loop Header: Depth=3
	v_add_u32_e32 v14, s30, v3
	v_sub_u32_e32 v16, 0, v14
	v_ashrrev_i32_e32 v15, 31, v14
	v_max_i32_e32 v14, v14, v16
	v_mul_hi_u32 v16, v14, v10
	v_xor_b32_e32 v15, s39, v15
	s_add_i32 s30, s30, 1
	v_mul_lo_u32 v17, v16, s10
	v_add_u32_e32 v18, 1, v16
	v_sub_u32_e32 v14, v14, v17
	v_cmp_le_u32_e32 vcc, s10, v14
	v_subrev_u32_e32 v17, s10, v14
	v_cndmask_b32_e32 v16, v16, v18, vcc
	v_cndmask_b32_e32 v14, v14, v17, vcc
	v_add_u32_e32 v17, 1, v16
	v_cmp_le_u32_e32 vcc, s10, v14
	v_cndmask_b32_e32 v14, v16, v17, vcc
	v_xor_b32_e32 v14, v14, v15
	v_sub_u32_e32 v14, v14, v15
	v_cmp_ge_i32_e32 vcc, v14, v4
	s_or_b64 s[28:29], vcc, s[28:29]
	s_cmp_ge_i32 s30, s9
	s_cselect_b64 s[34:35], -1, 0
	s_or_b64 s[34:35], vcc, s[34:35]
	s_and_b64 s[34:35], exec, s[34:35]
	s_or_b64 s[26:27], s[34:35], s[26:27]
	s_andn2_b64 s[24:25], s[24:25], exec
	s_and_b64 s[34:35], s[28:29], exec
	v_cndmask_b32_e32 v13, v13, v14, vcc
	v_cndmask_b32_e32 v7, v7, v2, vcc
	s_or_b64 s[24:25], s[24:25], s[34:35]
	s_andn2_b64 exec, exec, s[26:27]
	s_cbranch_execnz .LBB9_13
; %bb.14:                               ;   in Loop: Header=BB9_11 Depth=2
	s_or_b64 exec, exec, s[26:27]
	s_branch .LBB9_10
.LBB9_15:                               ;   in Loop: Header=BB9_7 Depth=1
	s_or_b64 exec, exec, s[22:23]
.LBB9_16:                               ;   in Loop: Header=BB9_7 Depth=1
	s_or_b64 exec, exec, s[20:21]
	v_mov_b32_dpp v2, v13 row_shr:1 row_mask:0xf bank_mask:0xf
	v_min_i32_e32 v2, v2, v13
	s_nop 1
	v_mov_b32_dpp v3, v2 row_shr:2 row_mask:0xf bank_mask:0xf
	v_min_i32_e32 v2, v3, v2
	v_cmp_gt_i32_e32 vcc, s11, v2
	s_and_b64 s[22:23], s[0:1], vcc
	s_and_saveexec_b64 s[20:21], s[22:23]
	s_cbranch_execz .LBB9_18
; %bb.17:                               ;   in Loop: Header=BB9_7 Depth=1
	v_add_u32_e32 v3, v12, v5
	v_ashrrev_i32_e32 v4, 31, v3
	v_lshlrev_b64 v[3:4], 2, v[3:4]
	v_add_u32_e32 v13, 1, v12
	s_waitcnt lgkmcnt(0)
	v_mov_b32_e32 v12, s7
	v_add_co_u32_e32 v3, vcc, s6, v3
	v_addc_co_u32_e32 v4, vcc, v12, v4, vcc
	v_add_u32_e32 v12, s33, v2
	global_store_dword v[3:4], v12, off
	v_mov_b32_e32 v12, v13
.LBB9_18:                               ;   in Loop: Header=BB9_7 Depth=1
	s_or_b64 exec, exec, s[20:21]
	ds_bpermute_b32 v13, v9, v2
	ds_bpermute_b32 v12, v9, v12
	v_cmp_lt_i32_e32 vcc, v7, v6
	s_and_saveexec_b64 s[20:21], vcc
	s_cbranch_execz .LBB9_6
; %bb.19:                               ;   in Loop: Header=BB9_7 Depth=1
	s_waitcnt lgkmcnt(0)
	v_add_u32_e32 v2, v8, v12
	v_mad_u64_u32 v[2:3], s[22:23], v2, s12, v[0:1]
	v_add_u32_e32 v3, v11, v7
	v_mul_lo_u32 v15, v13, s13
	v_mad_u64_u32 v[3:4], s[22:23], s8, v3, v[1:2]
	v_mul_lo_u32 v14, v2, s13
	s_mov_b64 s[22:23], 0
	v_mul_lo_u32 v16, s9, v3
	v_mov_b32_e32 v2, v7
	s_branch .LBB9_21
.LBB9_20:                               ;   in Loop: Header=BB9_21 Depth=2
	s_or_b64 exec, exec, s[28:29]
	s_and_b64 s[24:25], exec, s[24:25]
	s_or_b64 s[22:23], s[24:25], s[22:23]
	s_andn2_b64 exec, exec, s[22:23]
	s_cbranch_execz .LBB9_6
.LBB9_21:                               ;   Parent Loop BB9_7 Depth=1
                                        ; =>  This Loop Header: Depth=2
                                        ;       Child Loop BB9_24 Depth 3
	s_mov_b64 s[24:25], -1
	s_and_b64 vcc, exec, s[2:3]
	s_mov_b64 s[26:27], -1
	s_cbranch_vccnz .LBB9_29
; %bb.22:                               ;   in Loop: Header=BB9_21 Depth=2
	v_ashrrev_i32_e32 v3, 31, v2
	v_lshlrev_b64 v[3:4], 2, v[2:3]
	v_mov_b32_e32 v17, s19
	v_add_co_u32_e32 v3, vcc, s18, v3
	v_addc_co_u32_e32 v4, vcc, v17, v4, vcc
	global_load_dword v3, v[3:4], off
	s_mov_b64 s[28:29], 0
	s_mov_b32 s41, s9
                                        ; implicit-def: $sgpr26_sgpr27
	s_waitcnt vmcnt(0)
	v_subrev_u32_e32 v3, s38, v3
	v_mul_lo_u32 v17, v3, s9
	v_mov_b32_e32 v3, v16
	s_branch .LBB9_24
.LBB9_23:                               ;   in Loop: Header=BB9_24 Depth=3
	s_or_b64 exec, exec, s[36:37]
	s_xor_b64 s[34:35], s[34:35], -1
	s_and_b64 s[30:31], exec, s[30:31]
	s_or_b64 s[28:29], s[30:31], s[28:29]
	s_andn2_b64 s[26:27], s[26:27], exec
	s_and_b64 s[30:31], s[34:35], exec
	s_or_b64 s[26:27], s[26:27], s[30:31]
	s_andn2_b64 exec, exec, s[28:29]
	s_cbranch_execz .LBB9_28
.LBB9_24:                               ;   Parent Loop BB9_7 Depth=1
                                        ;     Parent Loop BB9_21 Depth=2
                                        ; =>    This Inner Loop Header: Depth=3
	v_sub_u32_e32 v4, 0, v17
	v_max_i32_e32 v4, v17, v4
	v_mul_hi_u32 v18, v4, v10
	v_ashrrev_i32_e32 v20, 31, v17
	v_xor_b32_e32 v20, s39, v20
	v_mul_lo_u32 v19, v18, s10
	v_add_u32_e32 v21, 1, v18
	v_sub_u32_e32 v4, v4, v19
	v_cmp_le_u32_e32 vcc, s10, v4
	v_subrev_u32_e32 v19, s10, v4
	v_cndmask_b32_e32 v18, v18, v21, vcc
	v_cndmask_b32_e32 v4, v4, v19, vcc
	v_add_u32_e32 v19, 1, v18
	v_cmp_le_u32_e32 vcc, s10, v4
	v_cndmask_b32_e32 v4, v18, v19, vcc
	v_xor_b32_e32 v4, v4, v20
	v_sub_u32_e32 v18, v4, v20
	v_cmp_eq_u32_e32 vcc, v18, v13
	s_and_saveexec_b64 s[30:31], vcc
	s_cbranch_execz .LBB9_26
; %bb.25:                               ;   in Loop: Header=BB9_24 Depth=3
	v_ashrrev_i32_e32 v4, 31, v3
	v_lshlrev_b64 v[19:20], 2, v[3:4]
	v_mov_b32_e32 v4, s17
	v_add_co_u32_e32 v19, vcc, s16, v19
	v_addc_co_u32_e32 v20, vcc, v4, v20, vcc
	global_load_dword v4, v[19:20], off
	v_sub_u32_e32 v19, v17, v15
	v_add_u32_e32 v19, v19, v14
	v_ashrrev_i32_e32 v20, 31, v19
	v_lshlrev_b64 v[19:20], 2, v[19:20]
	v_mov_b32_e32 v21, s15
	v_add_co_u32_e32 v19, vcc, s14, v19
	v_addc_co_u32_e32 v20, vcc, v21, v20, vcc
	s_waitcnt vmcnt(0)
	global_store_dword v[19:20], v4, off
.LBB9_26:                               ;   in Loop: Header=BB9_24 Depth=3
	s_or_b64 exec, exec, s[30:31]
	v_cmp_le_i32_e32 vcc, v18, v13
	s_mov_b64 s[30:31], -1
	s_mov_b64 s[34:35], -1
	s_and_saveexec_b64 s[36:37], vcc
	s_cbranch_execz .LBB9_23
; %bb.27:                               ;   in Loop: Header=BB9_24 Depth=3
	s_add_i32 s41, s41, -1
	s_cmp_eq_u32 s41, 0
	s_cselect_b64 s[30:31], -1, 0
	v_add_u32_e32 v17, 1, v17
	v_add_u32_e32 v3, 1, v3
	s_xor_b64 s[34:35], exec, -1
	s_orn2_b64 s[30:31], s[30:31], exec
	s_branch .LBB9_23
.LBB9_28:                               ;   in Loop: Header=BB9_21 Depth=2
	s_or_b64 exec, exec, s[28:29]
.LBB9_29:                               ;   in Loop: Header=BB9_21 Depth=2
	s_and_saveexec_b64 s[28:29], s[26:27]
	s_cbranch_execz .LBB9_20
; %bb.30:                               ;   in Loop: Header=BB9_21 Depth=2
	v_add_u32_e32 v2, 1, v2
	v_cmp_ge_i32_e32 vcc, v2, v6
	v_add_u32_e32 v16, s40, v16
	s_orn2_b64 s[24:25], vcc, exec
	s_branch .LBB9_20
.LBB9_31:
	s_endpgm
	.section	.rodata,"a",@progbits
	.p2align	6, 0x0
	.amdhsa_kernel _ZN9rocsparseL23gebsr2gebsr_fast_kernelIL20rocsparse_direction_0ELi16ELi4EfEEvii21rocsparse_index_base_PKT2_PKiS7_iiiiS2_PS3_PiS9_ii
		.amdhsa_group_segment_fixed_size 0
		.amdhsa_private_segment_fixed_size 0
		.amdhsa_kernarg_size 96
		.amdhsa_user_sgpr_count 6
		.amdhsa_user_sgpr_private_segment_buffer 1
		.amdhsa_user_sgpr_dispatch_ptr 0
		.amdhsa_user_sgpr_queue_ptr 0
		.amdhsa_user_sgpr_kernarg_segment_ptr 1
		.amdhsa_user_sgpr_dispatch_id 0
		.amdhsa_user_sgpr_flat_scratch_init 0
		.amdhsa_user_sgpr_private_segment_size 0
		.amdhsa_uses_dynamic_stack 0
		.amdhsa_system_sgpr_private_segment_wavefront_offset 0
		.amdhsa_system_sgpr_workgroup_id_x 1
		.amdhsa_system_sgpr_workgroup_id_y 0
		.amdhsa_system_sgpr_workgroup_id_z 0
		.amdhsa_system_sgpr_workgroup_info 0
		.amdhsa_system_vgpr_workitem_id 0
		.amdhsa_next_free_vgpr 22
		.amdhsa_next_free_sgpr 42
		.amdhsa_reserve_vcc 1
		.amdhsa_reserve_flat_scratch 0
		.amdhsa_float_round_mode_32 0
		.amdhsa_float_round_mode_16_64 0
		.amdhsa_float_denorm_mode_32 3
		.amdhsa_float_denorm_mode_16_64 3
		.amdhsa_dx10_clamp 1
		.amdhsa_ieee_mode 1
		.amdhsa_fp16_overflow 0
		.amdhsa_exception_fp_ieee_invalid_op 0
		.amdhsa_exception_fp_denorm_src 0
		.amdhsa_exception_fp_ieee_div_zero 0
		.amdhsa_exception_fp_ieee_overflow 0
		.amdhsa_exception_fp_ieee_underflow 0
		.amdhsa_exception_fp_ieee_inexact 0
		.amdhsa_exception_int_div_zero 0
	.end_amdhsa_kernel
	.section	.text._ZN9rocsparseL23gebsr2gebsr_fast_kernelIL20rocsparse_direction_0ELi16ELi4EfEEvii21rocsparse_index_base_PKT2_PKiS7_iiiiS2_PS3_PiS9_ii,"axG",@progbits,_ZN9rocsparseL23gebsr2gebsr_fast_kernelIL20rocsparse_direction_0ELi16ELi4EfEEvii21rocsparse_index_base_PKT2_PKiS7_iiiiS2_PS3_PiS9_ii,comdat
.Lfunc_end9:
	.size	_ZN9rocsparseL23gebsr2gebsr_fast_kernelIL20rocsparse_direction_0ELi16ELi4EfEEvii21rocsparse_index_base_PKT2_PKiS7_iiiiS2_PS3_PiS9_ii, .Lfunc_end9-_ZN9rocsparseL23gebsr2gebsr_fast_kernelIL20rocsparse_direction_0ELi16ELi4EfEEvii21rocsparse_index_base_PKT2_PKiS7_iiiiS2_PS3_PiS9_ii
                                        ; -- End function
	.set _ZN9rocsparseL23gebsr2gebsr_fast_kernelIL20rocsparse_direction_0ELi16ELi4EfEEvii21rocsparse_index_base_PKT2_PKiS7_iiiiS2_PS3_PiS9_ii.num_vgpr, 22
	.set _ZN9rocsparseL23gebsr2gebsr_fast_kernelIL20rocsparse_direction_0ELi16ELi4EfEEvii21rocsparse_index_base_PKT2_PKiS7_iiiiS2_PS3_PiS9_ii.num_agpr, 0
	.set _ZN9rocsparseL23gebsr2gebsr_fast_kernelIL20rocsparse_direction_0ELi16ELi4EfEEvii21rocsparse_index_base_PKT2_PKiS7_iiiiS2_PS3_PiS9_ii.numbered_sgpr, 42
	.set _ZN9rocsparseL23gebsr2gebsr_fast_kernelIL20rocsparse_direction_0ELi16ELi4EfEEvii21rocsparse_index_base_PKT2_PKiS7_iiiiS2_PS3_PiS9_ii.num_named_barrier, 0
	.set _ZN9rocsparseL23gebsr2gebsr_fast_kernelIL20rocsparse_direction_0ELi16ELi4EfEEvii21rocsparse_index_base_PKT2_PKiS7_iiiiS2_PS3_PiS9_ii.private_seg_size, 0
	.set _ZN9rocsparseL23gebsr2gebsr_fast_kernelIL20rocsparse_direction_0ELi16ELi4EfEEvii21rocsparse_index_base_PKT2_PKiS7_iiiiS2_PS3_PiS9_ii.uses_vcc, 1
	.set _ZN9rocsparseL23gebsr2gebsr_fast_kernelIL20rocsparse_direction_0ELi16ELi4EfEEvii21rocsparse_index_base_PKT2_PKiS7_iiiiS2_PS3_PiS9_ii.uses_flat_scratch, 0
	.set _ZN9rocsparseL23gebsr2gebsr_fast_kernelIL20rocsparse_direction_0ELi16ELi4EfEEvii21rocsparse_index_base_PKT2_PKiS7_iiiiS2_PS3_PiS9_ii.has_dyn_sized_stack, 0
	.set _ZN9rocsparseL23gebsr2gebsr_fast_kernelIL20rocsparse_direction_0ELi16ELi4EfEEvii21rocsparse_index_base_PKT2_PKiS7_iiiiS2_PS3_PiS9_ii.has_recursion, 0
	.set _ZN9rocsparseL23gebsr2gebsr_fast_kernelIL20rocsparse_direction_0ELi16ELi4EfEEvii21rocsparse_index_base_PKT2_PKiS7_iiiiS2_PS3_PiS9_ii.has_indirect_call, 0
	.section	.AMDGPU.csdata,"",@progbits
; Kernel info:
; codeLenInByte = 1504
; TotalNumSgprs: 46
; NumVgprs: 22
; ScratchSize: 0
; MemoryBound: 0
; FloatMode: 240
; IeeeMode: 1
; LDSByteSize: 0 bytes/workgroup (compile time only)
; SGPRBlocks: 5
; VGPRBlocks: 5
; NumSGPRsForWavesPerEU: 46
; NumVGPRsForWavesPerEU: 22
; Occupancy: 10
; WaveLimiterHint : 0
; COMPUTE_PGM_RSRC2:SCRATCH_EN: 0
; COMPUTE_PGM_RSRC2:USER_SGPR: 6
; COMPUTE_PGM_RSRC2:TRAP_HANDLER: 0
; COMPUTE_PGM_RSRC2:TGID_X_EN: 1
; COMPUTE_PGM_RSRC2:TGID_Y_EN: 0
; COMPUTE_PGM_RSRC2:TGID_Z_EN: 0
; COMPUTE_PGM_RSRC2:TIDIG_COMP_CNT: 0
	.section	.text._ZN9rocsparseL23gebsr2gebsr_fast_kernelIL20rocsparse_direction_0ELi16ELi8EfEEvii21rocsparse_index_base_PKT2_PKiS7_iiiiS2_PS3_PiS9_ii,"axG",@progbits,_ZN9rocsparseL23gebsr2gebsr_fast_kernelIL20rocsparse_direction_0ELi16ELi8EfEEvii21rocsparse_index_base_PKT2_PKiS7_iiiiS2_PS3_PiS9_ii,comdat
	.globl	_ZN9rocsparseL23gebsr2gebsr_fast_kernelIL20rocsparse_direction_0ELi16ELi8EfEEvii21rocsparse_index_base_PKT2_PKiS7_iiiiS2_PS3_PiS9_ii ; -- Begin function _ZN9rocsparseL23gebsr2gebsr_fast_kernelIL20rocsparse_direction_0ELi16ELi8EfEEvii21rocsparse_index_base_PKT2_PKiS7_iiiiS2_PS3_PiS9_ii
	.p2align	8
	.type	_ZN9rocsparseL23gebsr2gebsr_fast_kernelIL20rocsparse_direction_0ELi16ELi8EfEEvii21rocsparse_index_base_PKT2_PKiS7_iiiiS2_PS3_PiS9_ii,@function
_ZN9rocsparseL23gebsr2gebsr_fast_kernelIL20rocsparse_direction_0ELi16ELi8EfEEvii21rocsparse_index_base_PKT2_PKiS7_iiiiS2_PS3_PiS9_ii: ; @_ZN9rocsparseL23gebsr2gebsr_fast_kernelIL20rocsparse_direction_0ELi16ELi8EfEEvii21rocsparse_index_base_PKT2_PKiS7_iiiiS2_PS3_PiS9_ii
; %bb.0:
	s_load_dwordx4 s[8:11], s[4:5], 0x28
	s_load_dword s33, s[4:5], 0x38
	s_load_dwordx2 s[12:13], s[4:5], 0x58
	v_lshrrev_b32_e32 v4, 3, v0
	s_lshl_b32 s2, s6, 1
	s_waitcnt lgkmcnt(0)
	s_abs_i32 s3, s8
	v_cvt_f32_u32_e32 v1, s3
	s_sub_i32 s0, 0, s3
	v_and_b32_e32 v0, 7, v0
	s_load_dword s6, s[4:5], 0x0
	s_load_dword s38, s[4:5], 0x8
	v_rcp_iflag_f32_e32 v1, v1
	v_cmp_gt_i32_e32 vcc, s12, v0
	v_mul_f32_e32 v1, 0x4f7ffffe, v1
	v_cvt_u32_f32_e32 v5, v1
	v_or_b32_e32 v1, s2, v4
	v_mul_lo_u32 v6, s0, v5
	v_mad_u64_u32 v[2:3], s[0:1], v1, s12, v[0:1]
	v_mul_hi_u32 v3, v5, v6
	v_sub_u32_e32 v6, 0, v2
	v_max_i32_e32 v7, v2, v6
	v_xor_b32_e32 v2, s8, v2
	v_add_u32_e32 v3, v5, v3
	v_mul_hi_u32 v3, v7, v3
	v_ashrrev_i32_e32 v11, 31, v2
	v_mov_b32_e32 v5, 0
	v_mov_b32_e32 v6, 0
	v_mul_lo_u32 v8, v3, s3
	v_add_u32_e32 v2, 1, v3
	v_sub_u32_e32 v7, v7, v8
	v_cmp_le_u32_e64 s[0:1], s3, v7
	v_cndmask_b32_e64 v2, v3, v2, s[0:1]
	v_subrev_u32_e32 v3, s3, v7
	v_cndmask_b32_e64 v3, v7, v3, s[0:1]
	v_add_u32_e32 v7, 1, v2
	v_cmp_le_u32_e64 s[0:1], s3, v3
	v_cndmask_b32_e64 v2, v2, v7, s[0:1]
	v_xor_b32_e32 v12, v2, v11
	v_sub_u32_e32 v2, v12, v11
	s_waitcnt lgkmcnt(0)
	v_cmp_gt_i32_e64 s[0:1], s6, v2
	s_and_b64 s[6:7], vcc, s[0:1]
	v_mov_b32_e32 v7, 0
	s_and_saveexec_b64 s[0:1], s[6:7]
	s_cbranch_execnz .LBB10_3
; %bb.1:
	s_or_b64 exec, exec, s[0:1]
	v_cmp_gt_i32_e32 vcc, s10, v1
	s_and_saveexec_b64 s[0:1], vcc
	s_cbranch_execnz .LBB10_4
.LBB10_2:
	s_or_b64 exec, exec, s[0:1]
	s_cmp_lt_i32 s11, 1
	s_cbranch_scc0 .LBB10_5
	s_branch .LBB10_31
.LBB10_3:
	s_load_dwordx2 s[6:7], s[4:5], 0x18
	v_ashrrev_i32_e32 v3, 31, v2
	v_lshlrev_b64 v[2:3], 2, v[2:3]
	s_waitcnt lgkmcnt(0)
	v_mov_b32_e32 v6, s7
	v_add_co_u32_e32 v2, vcc, s6, v2
	v_addc_co_u32_e32 v3, vcc, v6, v3, vcc
	global_load_dwordx2 v[2:3], v[2:3], off
	s_waitcnt vmcnt(0)
	v_subrev_u32_e32 v7, s38, v2
	v_subrev_u32_e32 v6, s38, v3
	s_or_b64 exec, exec, s[0:1]
	v_cmp_gt_i32_e32 vcc, s10, v1
	s_and_saveexec_b64 s[0:1], vcc
	s_cbranch_execz .LBB10_2
.LBB10_4:
	s_load_dwordx2 s[6:7], s[4:5], 0x48
	v_ashrrev_i32_e32 v2, 31, v1
	v_lshlrev_b64 v[1:2], 2, v[1:2]
	s_waitcnt lgkmcnt(0)
	v_mov_b32_e32 v3, s7
	v_add_co_u32_e32 v1, vcc, s6, v1
	v_addc_co_u32_e32 v2, vcc, v3, v2, vcc
	global_load_dword v1, v[1:2], off
	s_waitcnt vmcnt(0)
	v_subrev_u32_e32 v5, s33, v1
	s_or_b64 exec, exec, s[0:1]
	s_cmp_lt_i32 s11, 1
	s_cbranch_scc1 .LBB10_31
.LBB10_5:
	s_cmp_gt_i32 s9, 0
	s_cselect_b64 s[20:21], -1, 0
	s_abs_i32 s10, s13
	v_cvt_f32_u32_e32 v1, s10
	s_sub_i32 s3, 0, s10
	s_load_dwordx2 s[6:7], s[4:5], 0x50
	s_load_dwordx2 s[14:15], s[4:5], 0x40
	;; [unrolled: 1-line block ×4, first 2 shown]
	v_add_u32_e32 v4, s2, v4
	v_rcp_iflag_f32_e32 v1, v1
	v_cmp_eq_u32_e64 s[0:1], 7, v0
	v_add_u32_e32 v8, -1, v5
	s_ashr_i32 s39, s13, 31
	v_mul_f32_e32 v1, 0x4f7ffffe, v1
	v_cvt_u32_f32_e32 v3, v1
	v_mbcnt_lo_u32_b32 v1, -1, 0
	v_mbcnt_hi_u32_b32 v9, -1, v1
	v_lshl_or_b32 v9, v9, 2, 28
	v_mul_lo_u32 v2, s3, v3
	v_sub_u32_e32 v11, v11, v12
	s_mul_i32 s40, s9, s8
	s_mov_b64 s[4:5], 0
	v_mul_hi_u32 v10, v3, v2
	v_mad_u64_u32 v[1:2], s[2:3], s12, v4, v[0:1]
	v_cndmask_b32_e64 v2, 0, 1, s[20:21]
	v_add_u32_e32 v10, v3, v10
	v_mov_b32_e32 v4, 0
	v_cmp_ne_u32_e64 s[2:3], 1, v2
	v_mov_b32_e32 v12, 0
	s_branch .LBB10_7
.LBB10_6:                               ;   in Loop: Header=BB10_7 Depth=1
	s_or_b64 exec, exec, s[20:21]
	s_waitcnt lgkmcnt(0)
	v_add_u32_e32 v4, 1, v13
	v_cmp_le_i32_e32 vcc, s11, v4
	s_or_b64 s[4:5], vcc, s[4:5]
	s_andn2_b64 exec, exec, s[4:5]
	s_cbranch_execz .LBB10_31
.LBB10_7:                               ; =>This Loop Header: Depth=1
                                        ;     Child Loop BB10_11 Depth 2
                                        ;       Child Loop BB10_13 Depth 3
                                        ;     Child Loop BB10_21 Depth 2
                                        ;       Child Loop BB10_24 Depth 3
	v_cmp_lt_i32_e32 vcc, v7, v6
	v_mov_b32_e32 v13, s11
	s_and_saveexec_b64 s[20:21], vcc
	s_cbranch_execz .LBB10_16
; %bb.8:                                ;   in Loop: Header=BB10_7 Depth=1
	s_mov_b64 s[22:23], 0
	v_mov_b32_e32 v13, s11
	v_mov_b32_e32 v2, v7
	s_branch .LBB10_11
.LBB10_9:                               ;   in Loop: Header=BB10_11 Depth=2
	s_mov_b64 s[24:25], 0
.LBB10_10:                              ;   in Loop: Header=BB10_11 Depth=2
	v_add_u32_e32 v2, 1, v2
	v_cmp_ge_i32_e32 vcc, v2, v6
	s_or_b64 s[24:25], s[24:25], vcc
	s_and_b64 s[24:25], exec, s[24:25]
	s_or_b64 s[22:23], s[24:25], s[22:23]
	s_andn2_b64 exec, exec, s[22:23]
	s_cbranch_execz .LBB10_15
.LBB10_11:                              ;   Parent Loop BB10_7 Depth=1
                                        ; =>  This Loop Header: Depth=2
                                        ;       Child Loop BB10_13 Depth 3
	s_and_b64 vcc, exec, s[2:3]
	s_cbranch_vccnz .LBB10_9
; %bb.12:                               ;   in Loop: Header=BB10_11 Depth=2
	v_ashrrev_i32_e32 v3, 31, v2
	v_lshlrev_b64 v[14:15], 2, v[2:3]
	s_waitcnt lgkmcnt(0)
	v_mov_b32_e32 v3, s19
	v_add_co_u32_e32 v14, vcc, s18, v14
	v_addc_co_u32_e32 v15, vcc, v3, v15, vcc
	global_load_dword v3, v[14:15], off
	s_mov_b32 s30, 0
	s_mov_b64 s[28:29], 0
	s_mov_b64 s[26:27], 0
                                        ; implicit-def: $sgpr24_sgpr25
	s_waitcnt vmcnt(0)
	v_subrev_u32_e32 v3, s38, v3
	v_mul_lo_u32 v3, v3, s9
.LBB10_13:                              ;   Parent Loop BB10_7 Depth=1
                                        ;     Parent Loop BB10_11 Depth=2
                                        ; =>    This Inner Loop Header: Depth=3
	v_add_u32_e32 v14, s30, v3
	v_sub_u32_e32 v16, 0, v14
	v_ashrrev_i32_e32 v15, 31, v14
	v_max_i32_e32 v14, v14, v16
	v_mul_hi_u32 v16, v14, v10
	v_xor_b32_e32 v15, s39, v15
	s_add_i32 s30, s30, 1
	v_mul_lo_u32 v17, v16, s10
	v_add_u32_e32 v18, 1, v16
	v_sub_u32_e32 v14, v14, v17
	v_cmp_le_u32_e32 vcc, s10, v14
	v_subrev_u32_e32 v17, s10, v14
	v_cndmask_b32_e32 v16, v16, v18, vcc
	v_cndmask_b32_e32 v14, v14, v17, vcc
	v_add_u32_e32 v17, 1, v16
	v_cmp_le_u32_e32 vcc, s10, v14
	v_cndmask_b32_e32 v14, v16, v17, vcc
	v_xor_b32_e32 v14, v14, v15
	v_sub_u32_e32 v14, v14, v15
	v_cmp_ge_i32_e32 vcc, v14, v4
	s_or_b64 s[28:29], vcc, s[28:29]
	s_cmp_ge_i32 s30, s9
	s_cselect_b64 s[34:35], -1, 0
	s_or_b64 s[34:35], vcc, s[34:35]
	s_and_b64 s[34:35], exec, s[34:35]
	s_or_b64 s[26:27], s[34:35], s[26:27]
	s_andn2_b64 s[24:25], s[24:25], exec
	s_and_b64 s[34:35], s[28:29], exec
	v_cndmask_b32_e32 v13, v13, v14, vcc
	v_cndmask_b32_e32 v7, v7, v2, vcc
	s_or_b64 s[24:25], s[24:25], s[34:35]
	s_andn2_b64 exec, exec, s[26:27]
	s_cbranch_execnz .LBB10_13
; %bb.14:                               ;   in Loop: Header=BB10_11 Depth=2
	s_or_b64 exec, exec, s[26:27]
	s_branch .LBB10_10
.LBB10_15:                              ;   in Loop: Header=BB10_7 Depth=1
	s_or_b64 exec, exec, s[22:23]
.LBB10_16:                              ;   in Loop: Header=BB10_7 Depth=1
	s_or_b64 exec, exec, s[20:21]
	v_mov_b32_dpp v2, v13 row_shr:1 row_mask:0xf bank_mask:0xf
	v_min_i32_e32 v2, v2, v13
	s_nop 1
	v_mov_b32_dpp v3, v2 row_shr:2 row_mask:0xf bank_mask:0xf
	v_min_i32_e32 v2, v3, v2
	s_nop 1
	v_mov_b32_dpp v3, v2 row_shr:4 row_mask:0xf bank_mask:0xe
	v_min_i32_e32 v2, v3, v2
	v_cmp_gt_i32_e32 vcc, s11, v2
	s_and_b64 s[22:23], s[0:1], vcc
	s_and_saveexec_b64 s[20:21], s[22:23]
	s_cbranch_execz .LBB10_18
; %bb.17:                               ;   in Loop: Header=BB10_7 Depth=1
	v_add_u32_e32 v3, v12, v5
	v_ashrrev_i32_e32 v4, 31, v3
	v_lshlrev_b64 v[3:4], 2, v[3:4]
	v_add_u32_e32 v13, 1, v12
	s_waitcnt lgkmcnt(0)
	v_mov_b32_e32 v12, s7
	v_add_co_u32_e32 v3, vcc, s6, v3
	v_addc_co_u32_e32 v4, vcc, v12, v4, vcc
	v_add_u32_e32 v12, s33, v2
	global_store_dword v[3:4], v12, off
	v_mov_b32_e32 v12, v13
.LBB10_18:                              ;   in Loop: Header=BB10_7 Depth=1
	s_or_b64 exec, exec, s[20:21]
	ds_bpermute_b32 v13, v9, v2
	ds_bpermute_b32 v12, v9, v12
	v_cmp_lt_i32_e32 vcc, v7, v6
	s_and_saveexec_b64 s[20:21], vcc
	s_cbranch_execz .LBB10_6
; %bb.19:                               ;   in Loop: Header=BB10_7 Depth=1
	s_waitcnt lgkmcnt(0)
	v_add_u32_e32 v2, v8, v12
	v_mad_u64_u32 v[2:3], s[22:23], v2, s12, v[0:1]
	v_add_u32_e32 v3, v11, v7
	v_mul_lo_u32 v15, v13, s13
	v_mad_u64_u32 v[3:4], s[22:23], s8, v3, v[1:2]
	v_mul_lo_u32 v14, v2, s13
	s_mov_b64 s[22:23], 0
	v_mul_lo_u32 v16, s9, v3
	v_mov_b32_e32 v2, v7
	s_branch .LBB10_21
.LBB10_20:                              ;   in Loop: Header=BB10_21 Depth=2
	s_or_b64 exec, exec, s[28:29]
	s_and_b64 s[24:25], exec, s[24:25]
	s_or_b64 s[22:23], s[24:25], s[22:23]
	s_andn2_b64 exec, exec, s[22:23]
	s_cbranch_execz .LBB10_6
.LBB10_21:                              ;   Parent Loop BB10_7 Depth=1
                                        ; =>  This Loop Header: Depth=2
                                        ;       Child Loop BB10_24 Depth 3
	s_mov_b64 s[24:25], -1
	s_and_b64 vcc, exec, s[2:3]
	s_mov_b64 s[26:27], -1
	s_cbranch_vccnz .LBB10_29
; %bb.22:                               ;   in Loop: Header=BB10_21 Depth=2
	v_ashrrev_i32_e32 v3, 31, v2
	v_lshlrev_b64 v[3:4], 2, v[2:3]
	v_mov_b32_e32 v17, s19
	v_add_co_u32_e32 v3, vcc, s18, v3
	v_addc_co_u32_e32 v4, vcc, v17, v4, vcc
	global_load_dword v3, v[3:4], off
	s_mov_b64 s[28:29], 0
	s_mov_b32 s41, s9
                                        ; implicit-def: $sgpr26_sgpr27
	s_waitcnt vmcnt(0)
	v_subrev_u32_e32 v3, s38, v3
	v_mul_lo_u32 v17, v3, s9
	v_mov_b32_e32 v3, v16
	s_branch .LBB10_24
.LBB10_23:                              ;   in Loop: Header=BB10_24 Depth=3
	s_or_b64 exec, exec, s[36:37]
	s_xor_b64 s[34:35], s[34:35], -1
	s_and_b64 s[30:31], exec, s[30:31]
	s_or_b64 s[28:29], s[30:31], s[28:29]
	s_andn2_b64 s[26:27], s[26:27], exec
	s_and_b64 s[30:31], s[34:35], exec
	s_or_b64 s[26:27], s[26:27], s[30:31]
	s_andn2_b64 exec, exec, s[28:29]
	s_cbranch_execz .LBB10_28
.LBB10_24:                              ;   Parent Loop BB10_7 Depth=1
                                        ;     Parent Loop BB10_21 Depth=2
                                        ; =>    This Inner Loop Header: Depth=3
	v_sub_u32_e32 v4, 0, v17
	v_max_i32_e32 v4, v17, v4
	v_mul_hi_u32 v18, v4, v10
	v_ashrrev_i32_e32 v20, 31, v17
	v_xor_b32_e32 v20, s39, v20
	v_mul_lo_u32 v19, v18, s10
	v_add_u32_e32 v21, 1, v18
	v_sub_u32_e32 v4, v4, v19
	v_cmp_le_u32_e32 vcc, s10, v4
	v_subrev_u32_e32 v19, s10, v4
	v_cndmask_b32_e32 v18, v18, v21, vcc
	v_cndmask_b32_e32 v4, v4, v19, vcc
	v_add_u32_e32 v19, 1, v18
	v_cmp_le_u32_e32 vcc, s10, v4
	v_cndmask_b32_e32 v4, v18, v19, vcc
	v_xor_b32_e32 v4, v4, v20
	v_sub_u32_e32 v18, v4, v20
	v_cmp_eq_u32_e32 vcc, v18, v13
	s_and_saveexec_b64 s[30:31], vcc
	s_cbranch_execz .LBB10_26
; %bb.25:                               ;   in Loop: Header=BB10_24 Depth=3
	v_ashrrev_i32_e32 v4, 31, v3
	v_lshlrev_b64 v[19:20], 2, v[3:4]
	v_mov_b32_e32 v4, s17
	v_add_co_u32_e32 v19, vcc, s16, v19
	v_addc_co_u32_e32 v20, vcc, v4, v20, vcc
	global_load_dword v4, v[19:20], off
	v_sub_u32_e32 v19, v17, v15
	v_add_u32_e32 v19, v19, v14
	v_ashrrev_i32_e32 v20, 31, v19
	v_lshlrev_b64 v[19:20], 2, v[19:20]
	v_mov_b32_e32 v21, s15
	v_add_co_u32_e32 v19, vcc, s14, v19
	v_addc_co_u32_e32 v20, vcc, v21, v20, vcc
	s_waitcnt vmcnt(0)
	global_store_dword v[19:20], v4, off
.LBB10_26:                              ;   in Loop: Header=BB10_24 Depth=3
	s_or_b64 exec, exec, s[30:31]
	v_cmp_le_i32_e32 vcc, v18, v13
	s_mov_b64 s[30:31], -1
	s_mov_b64 s[34:35], -1
	s_and_saveexec_b64 s[36:37], vcc
	s_cbranch_execz .LBB10_23
; %bb.27:                               ;   in Loop: Header=BB10_24 Depth=3
	s_add_i32 s41, s41, -1
	s_cmp_eq_u32 s41, 0
	s_cselect_b64 s[30:31], -1, 0
	v_add_u32_e32 v17, 1, v17
	v_add_u32_e32 v3, 1, v3
	s_xor_b64 s[34:35], exec, -1
	s_orn2_b64 s[30:31], s[30:31], exec
	s_branch .LBB10_23
.LBB10_28:                              ;   in Loop: Header=BB10_21 Depth=2
	s_or_b64 exec, exec, s[28:29]
.LBB10_29:                              ;   in Loop: Header=BB10_21 Depth=2
	s_and_saveexec_b64 s[28:29], s[26:27]
	s_cbranch_execz .LBB10_20
; %bb.30:                               ;   in Loop: Header=BB10_21 Depth=2
	v_add_u32_e32 v2, 1, v2
	v_cmp_ge_i32_e32 vcc, v2, v6
	v_add_u32_e32 v16, s40, v16
	s_orn2_b64 s[24:25], vcc, exec
	s_branch .LBB10_20
.LBB10_31:
	s_endpgm
	.section	.rodata,"a",@progbits
	.p2align	6, 0x0
	.amdhsa_kernel _ZN9rocsparseL23gebsr2gebsr_fast_kernelIL20rocsparse_direction_0ELi16ELi8EfEEvii21rocsparse_index_base_PKT2_PKiS7_iiiiS2_PS3_PiS9_ii
		.amdhsa_group_segment_fixed_size 0
		.amdhsa_private_segment_fixed_size 0
		.amdhsa_kernarg_size 96
		.amdhsa_user_sgpr_count 6
		.amdhsa_user_sgpr_private_segment_buffer 1
		.amdhsa_user_sgpr_dispatch_ptr 0
		.amdhsa_user_sgpr_queue_ptr 0
		.amdhsa_user_sgpr_kernarg_segment_ptr 1
		.amdhsa_user_sgpr_dispatch_id 0
		.amdhsa_user_sgpr_flat_scratch_init 0
		.amdhsa_user_sgpr_private_segment_size 0
		.amdhsa_uses_dynamic_stack 0
		.amdhsa_system_sgpr_private_segment_wavefront_offset 0
		.amdhsa_system_sgpr_workgroup_id_x 1
		.amdhsa_system_sgpr_workgroup_id_y 0
		.amdhsa_system_sgpr_workgroup_id_z 0
		.amdhsa_system_sgpr_workgroup_info 0
		.amdhsa_system_vgpr_workitem_id 0
		.amdhsa_next_free_vgpr 22
		.amdhsa_next_free_sgpr 42
		.amdhsa_reserve_vcc 1
		.amdhsa_reserve_flat_scratch 0
		.amdhsa_float_round_mode_32 0
		.amdhsa_float_round_mode_16_64 0
		.amdhsa_float_denorm_mode_32 3
		.amdhsa_float_denorm_mode_16_64 3
		.amdhsa_dx10_clamp 1
		.amdhsa_ieee_mode 1
		.amdhsa_fp16_overflow 0
		.amdhsa_exception_fp_ieee_invalid_op 0
		.amdhsa_exception_fp_denorm_src 0
		.amdhsa_exception_fp_ieee_div_zero 0
		.amdhsa_exception_fp_ieee_overflow 0
		.amdhsa_exception_fp_ieee_underflow 0
		.amdhsa_exception_fp_ieee_inexact 0
		.amdhsa_exception_int_div_zero 0
	.end_amdhsa_kernel
	.section	.text._ZN9rocsparseL23gebsr2gebsr_fast_kernelIL20rocsparse_direction_0ELi16ELi8EfEEvii21rocsparse_index_base_PKT2_PKiS7_iiiiS2_PS3_PiS9_ii,"axG",@progbits,_ZN9rocsparseL23gebsr2gebsr_fast_kernelIL20rocsparse_direction_0ELi16ELi8EfEEvii21rocsparse_index_base_PKT2_PKiS7_iiiiS2_PS3_PiS9_ii,comdat
.Lfunc_end10:
	.size	_ZN9rocsparseL23gebsr2gebsr_fast_kernelIL20rocsparse_direction_0ELi16ELi8EfEEvii21rocsparse_index_base_PKT2_PKiS7_iiiiS2_PS3_PiS9_ii, .Lfunc_end10-_ZN9rocsparseL23gebsr2gebsr_fast_kernelIL20rocsparse_direction_0ELi16ELi8EfEEvii21rocsparse_index_base_PKT2_PKiS7_iiiiS2_PS3_PiS9_ii
                                        ; -- End function
	.set _ZN9rocsparseL23gebsr2gebsr_fast_kernelIL20rocsparse_direction_0ELi16ELi8EfEEvii21rocsparse_index_base_PKT2_PKiS7_iiiiS2_PS3_PiS9_ii.num_vgpr, 22
	.set _ZN9rocsparseL23gebsr2gebsr_fast_kernelIL20rocsparse_direction_0ELi16ELi8EfEEvii21rocsparse_index_base_PKT2_PKiS7_iiiiS2_PS3_PiS9_ii.num_agpr, 0
	.set _ZN9rocsparseL23gebsr2gebsr_fast_kernelIL20rocsparse_direction_0ELi16ELi8EfEEvii21rocsparse_index_base_PKT2_PKiS7_iiiiS2_PS3_PiS9_ii.numbered_sgpr, 42
	.set _ZN9rocsparseL23gebsr2gebsr_fast_kernelIL20rocsparse_direction_0ELi16ELi8EfEEvii21rocsparse_index_base_PKT2_PKiS7_iiiiS2_PS3_PiS9_ii.num_named_barrier, 0
	.set _ZN9rocsparseL23gebsr2gebsr_fast_kernelIL20rocsparse_direction_0ELi16ELi8EfEEvii21rocsparse_index_base_PKT2_PKiS7_iiiiS2_PS3_PiS9_ii.private_seg_size, 0
	.set _ZN9rocsparseL23gebsr2gebsr_fast_kernelIL20rocsparse_direction_0ELi16ELi8EfEEvii21rocsparse_index_base_PKT2_PKiS7_iiiiS2_PS3_PiS9_ii.uses_vcc, 1
	.set _ZN9rocsparseL23gebsr2gebsr_fast_kernelIL20rocsparse_direction_0ELi16ELi8EfEEvii21rocsparse_index_base_PKT2_PKiS7_iiiiS2_PS3_PiS9_ii.uses_flat_scratch, 0
	.set _ZN9rocsparseL23gebsr2gebsr_fast_kernelIL20rocsparse_direction_0ELi16ELi8EfEEvii21rocsparse_index_base_PKT2_PKiS7_iiiiS2_PS3_PiS9_ii.has_dyn_sized_stack, 0
	.set _ZN9rocsparseL23gebsr2gebsr_fast_kernelIL20rocsparse_direction_0ELi16ELi8EfEEvii21rocsparse_index_base_PKT2_PKiS7_iiiiS2_PS3_PiS9_ii.has_recursion, 0
	.set _ZN9rocsparseL23gebsr2gebsr_fast_kernelIL20rocsparse_direction_0ELi16ELi8EfEEvii21rocsparse_index_base_PKT2_PKiS7_iiiiS2_PS3_PiS9_ii.has_indirect_call, 0
	.section	.AMDGPU.csdata,"",@progbits
; Kernel info:
; codeLenInByte = 1520
; TotalNumSgprs: 46
; NumVgprs: 22
; ScratchSize: 0
; MemoryBound: 0
; FloatMode: 240
; IeeeMode: 1
; LDSByteSize: 0 bytes/workgroup (compile time only)
; SGPRBlocks: 5
; VGPRBlocks: 5
; NumSGPRsForWavesPerEU: 46
; NumVGPRsForWavesPerEU: 22
; Occupancy: 10
; WaveLimiterHint : 0
; COMPUTE_PGM_RSRC2:SCRATCH_EN: 0
; COMPUTE_PGM_RSRC2:USER_SGPR: 6
; COMPUTE_PGM_RSRC2:TRAP_HANDLER: 0
; COMPUTE_PGM_RSRC2:TGID_X_EN: 1
; COMPUTE_PGM_RSRC2:TGID_Y_EN: 0
; COMPUTE_PGM_RSRC2:TGID_Z_EN: 0
; COMPUTE_PGM_RSRC2:TIDIG_COMP_CNT: 0
	.section	.text._ZN9rocsparseL23gebsr2gebsr_fast_kernelIL20rocsparse_direction_0ELi16ELi16EfEEvii21rocsparse_index_base_PKT2_PKiS7_iiiiS2_PS3_PiS9_ii,"axG",@progbits,_ZN9rocsparseL23gebsr2gebsr_fast_kernelIL20rocsparse_direction_0ELi16ELi16EfEEvii21rocsparse_index_base_PKT2_PKiS7_iiiiS2_PS3_PiS9_ii,comdat
	.globl	_ZN9rocsparseL23gebsr2gebsr_fast_kernelIL20rocsparse_direction_0ELi16ELi16EfEEvii21rocsparse_index_base_PKT2_PKiS7_iiiiS2_PS3_PiS9_ii ; -- Begin function _ZN9rocsparseL23gebsr2gebsr_fast_kernelIL20rocsparse_direction_0ELi16ELi16EfEEvii21rocsparse_index_base_PKT2_PKiS7_iiiiS2_PS3_PiS9_ii
	.p2align	8
	.type	_ZN9rocsparseL23gebsr2gebsr_fast_kernelIL20rocsparse_direction_0ELi16ELi16EfEEvii21rocsparse_index_base_PKT2_PKiS7_iiiiS2_PS3_PiS9_ii,@function
_ZN9rocsparseL23gebsr2gebsr_fast_kernelIL20rocsparse_direction_0ELi16ELi16EfEEvii21rocsparse_index_base_PKT2_PKiS7_iiiiS2_PS3_PiS9_ii: ; @_ZN9rocsparseL23gebsr2gebsr_fast_kernelIL20rocsparse_direction_0ELi16ELi16EfEEvii21rocsparse_index_base_PKT2_PKiS7_iiiiS2_PS3_PiS9_ii
; %bb.0:
	s_load_dwordx4 s[8:11], s[4:5], 0x28
	s_load_dword s33, s[4:5], 0x38
	s_load_dwordx2 s[12:13], s[4:5], 0x58
	s_load_dword s3, s[4:5], 0x0
	s_load_dword s38, s[4:5], 0x8
	s_mov_b32 s39, 0
	s_waitcnt lgkmcnt(0)
	s_abs_i32 s2, s8
	v_cvt_f32_u32_e32 v1, s2
	s_sub_i32 s0, 0, s2
	v_cmp_gt_i32_e32 vcc, s12, v0
	v_mov_b32_e32 v5, 0
	v_rcp_iflag_f32_e32 v1, v1
	v_mul_f32_e32 v1, 0x4f7ffffe, v1
	v_cvt_u32_f32_e32 v2, v1
	v_mul_lo_u32 v1, s0, v2
	s_mul_i32 s0, s12, s6
	v_mul_hi_u32 v3, v2, v1
	v_add_u32_e32 v1, s0, v0
	v_sub_u32_e32 v4, 0, v1
	v_max_i32_e32 v6, v1, v4
	v_add_u32_e32 v2, v2, v3
	v_mul_hi_u32 v2, v6, v2
	v_xor_b32_e32 v4, s8, v1
	v_ashrrev_i32_e32 v4, 31, v4
	v_mul_lo_u32 v3, v2, s2
	v_add_u32_e32 v7, 1, v2
	v_sub_u32_e32 v3, v6, v3
	v_cmp_le_u32_e64 s[0:1], s2, v3
	v_subrev_u32_e32 v6, s2, v3
	v_cndmask_b32_e64 v2, v2, v7, s[0:1]
	v_cndmask_b32_e64 v3, v3, v6, s[0:1]
	v_add_u32_e32 v6, 1, v2
	v_cmp_le_u32_e64 s[0:1], s2, v3
	v_cndmask_b32_e64 v2, v2, v6, s[0:1]
	v_xor_b32_e32 v7, v2, v4
	v_sub_u32_e32 v2, v7, v4
	v_cmp_gt_i32_e64 s[0:1], s3, v2
	s_and_b64 s[2:3], vcc, s[0:1]
	v_mov_b32_e32 v6, 0
	s_and_saveexec_b64 s[0:1], s[2:3]
	s_cbranch_execnz .LBB11_3
; %bb.1:
	s_or_b64 exec, exec, s[0:1]
	s_cmp_ge_i32 s6, s10
	s_cbranch_scc0 .LBB11_4
.LBB11_2:
	s_cmp_lt_i32 s11, 1
	s_cbranch_scc0 .LBB11_5
	s_branch .LBB11_31
.LBB11_3:
	s_load_dwordx2 s[2:3], s[4:5], 0x18
	v_ashrrev_i32_e32 v3, 31, v2
	v_lshlrev_b64 v[2:3], 2, v[2:3]
	s_waitcnt lgkmcnt(0)
	v_mov_b32_e32 v5, s3
	v_add_co_u32_e32 v2, vcc, s2, v2
	v_addc_co_u32_e32 v3, vcc, v5, v3, vcc
	global_load_dwordx2 v[2:3], v[2:3], off
	s_waitcnt vmcnt(0)
	v_subrev_u32_e32 v6, s38, v2
	v_subrev_u32_e32 v5, s38, v3
	s_or_b64 exec, exec, s[0:1]
	s_cmp_ge_i32 s6, s10
	s_cbranch_scc1 .LBB11_2
.LBB11_4:
	s_load_dwordx2 s[0:1], s[4:5], 0x48
	s_ashr_i32 s7, s6, 31
	s_lshl_b64 s[2:3], s[6:7], 2
	s_waitcnt lgkmcnt(0)
	s_add_u32 s0, s0, s2
	s_addc_u32 s1, s1, s3
	s_load_dword s0, s[0:1], 0x0
	s_waitcnt lgkmcnt(0)
	s_sub_i32 s39, s0, s33
	s_cmp_lt_i32 s11, 1
	s_cbranch_scc1 .LBB11_31
.LBB11_5:
	s_cmp_gt_i32 s9, 0
	s_cselect_b64 s[2:3], -1, 0
	s_abs_i32 s10, s13
	v_cvt_f32_u32_e32 v2, s10
	s_load_dwordx2 s[6:7], s[4:5], 0x50
	s_load_dwordx2 s[14:15], s[4:5], 0x40
	;; [unrolled: 1-line block ×4, first 2 shown]
	s_sub_i32 s4, 0, s10
	v_mbcnt_lo_u32_b32 v3, -1, 0
	v_rcp_iflag_f32_e32 v2, v2
	v_mbcnt_hi_u32_b32 v3, -1, v3
	v_cmp_eq_u32_e64 s[0:1], 15, v0
	v_sub_u32_e32 v7, v4, v7
	v_mul_f32_e32 v2, 0x4f7ffffe, v2
	v_cvt_u32_f32_e32 v2, v2
	s_mul_i32 s40, s9, s8
	v_mov_b32_e32 v4, 0
	s_add_i32 s41, s39, -1
	v_mul_lo_u32 v8, s4, v2
	s_ashr_i32 s42, s13, 31
	s_mov_b64 s[4:5], 0
	v_mov_b32_e32 v10, 0
	v_mul_hi_u32 v9, v2, v8
	v_lshl_or_b32 v8, v3, 2, 60
	v_add_u32_e32 v9, v2, v9
	v_cndmask_b32_e64 v2, 0, 1, s[2:3]
	v_cmp_ne_u32_e64 s[2:3], 1, v2
	s_branch .LBB11_7
.LBB11_6:                               ;   in Loop: Header=BB11_7 Depth=1
	s_or_b64 exec, exec, s[20:21]
	s_waitcnt lgkmcnt(0)
	v_add_u32_e32 v4, 1, v11
	v_cmp_le_i32_e32 vcc, s11, v4
	s_or_b64 s[4:5], vcc, s[4:5]
	s_andn2_b64 exec, exec, s[4:5]
	s_cbranch_execz .LBB11_31
.LBB11_7:                               ; =>This Loop Header: Depth=1
                                        ;     Child Loop BB11_11 Depth 2
                                        ;       Child Loop BB11_13 Depth 3
                                        ;     Child Loop BB11_21 Depth 2
                                        ;       Child Loop BB11_24 Depth 3
	v_cmp_lt_i32_e32 vcc, v6, v5
	v_mov_b32_e32 v11, s11
	s_and_saveexec_b64 s[20:21], vcc
	s_cbranch_execz .LBB11_16
; %bb.8:                                ;   in Loop: Header=BB11_7 Depth=1
	s_mov_b64 s[22:23], 0
	v_mov_b32_e32 v11, s11
	v_mov_b32_e32 v2, v6
	s_branch .LBB11_11
.LBB11_9:                               ;   in Loop: Header=BB11_11 Depth=2
	s_mov_b64 s[24:25], 0
.LBB11_10:                              ;   in Loop: Header=BB11_11 Depth=2
	v_add_u32_e32 v2, 1, v2
	v_cmp_ge_i32_e32 vcc, v2, v5
	s_or_b64 s[24:25], s[24:25], vcc
	s_and_b64 s[24:25], exec, s[24:25]
	s_or_b64 s[22:23], s[24:25], s[22:23]
	s_andn2_b64 exec, exec, s[22:23]
	s_cbranch_execz .LBB11_15
.LBB11_11:                              ;   Parent Loop BB11_7 Depth=1
                                        ; =>  This Loop Header: Depth=2
                                        ;       Child Loop BB11_13 Depth 3
	s_and_b64 vcc, exec, s[2:3]
	s_cbranch_vccnz .LBB11_9
; %bb.12:                               ;   in Loop: Header=BB11_11 Depth=2
	v_ashrrev_i32_e32 v3, 31, v2
	v_lshlrev_b64 v[12:13], 2, v[2:3]
	s_waitcnt lgkmcnt(0)
	v_mov_b32_e32 v3, s19
	v_add_co_u32_e32 v12, vcc, s18, v12
	v_addc_co_u32_e32 v13, vcc, v3, v13, vcc
	global_load_dword v3, v[12:13], off
	s_mov_b32 s30, 0
	s_mov_b64 s[28:29], 0
	s_mov_b64 s[26:27], 0
                                        ; implicit-def: $sgpr24_sgpr25
	s_waitcnt vmcnt(0)
	v_subrev_u32_e32 v3, s38, v3
	v_mul_lo_u32 v3, v3, s9
.LBB11_13:                              ;   Parent Loop BB11_7 Depth=1
                                        ;     Parent Loop BB11_11 Depth=2
                                        ; =>    This Inner Loop Header: Depth=3
	v_add_u32_e32 v12, s30, v3
	v_sub_u32_e32 v14, 0, v12
	v_ashrrev_i32_e32 v13, 31, v12
	v_max_i32_e32 v12, v12, v14
	v_mul_hi_u32 v14, v12, v9
	v_xor_b32_e32 v13, s42, v13
	s_add_i32 s30, s30, 1
	v_mul_lo_u32 v15, v14, s10
	v_add_u32_e32 v16, 1, v14
	v_sub_u32_e32 v12, v12, v15
	v_cmp_le_u32_e32 vcc, s10, v12
	v_subrev_u32_e32 v15, s10, v12
	v_cndmask_b32_e32 v14, v14, v16, vcc
	v_cndmask_b32_e32 v12, v12, v15, vcc
	v_add_u32_e32 v15, 1, v14
	v_cmp_le_u32_e32 vcc, s10, v12
	v_cndmask_b32_e32 v12, v14, v15, vcc
	v_xor_b32_e32 v12, v12, v13
	v_sub_u32_e32 v12, v12, v13
	v_cmp_ge_i32_e32 vcc, v12, v4
	s_or_b64 s[28:29], vcc, s[28:29]
	s_cmp_ge_i32 s30, s9
	s_cselect_b64 s[34:35], -1, 0
	s_or_b64 s[34:35], vcc, s[34:35]
	s_and_b64 s[34:35], exec, s[34:35]
	s_or_b64 s[26:27], s[34:35], s[26:27]
	s_andn2_b64 s[24:25], s[24:25], exec
	s_and_b64 s[34:35], s[28:29], exec
	v_cndmask_b32_e32 v11, v11, v12, vcc
	v_cndmask_b32_e32 v6, v6, v2, vcc
	s_or_b64 s[24:25], s[24:25], s[34:35]
	s_andn2_b64 exec, exec, s[26:27]
	s_cbranch_execnz .LBB11_13
; %bb.14:                               ;   in Loop: Header=BB11_11 Depth=2
	s_or_b64 exec, exec, s[26:27]
	s_branch .LBB11_10
.LBB11_15:                              ;   in Loop: Header=BB11_7 Depth=1
	s_or_b64 exec, exec, s[22:23]
.LBB11_16:                              ;   in Loop: Header=BB11_7 Depth=1
	s_or_b64 exec, exec, s[20:21]
	v_mov_b32_dpp v2, v11 row_shr:1 row_mask:0xf bank_mask:0xf
	v_min_i32_e32 v2, v2, v11
	s_nop 1
	v_mov_b32_dpp v3, v2 row_shr:2 row_mask:0xf bank_mask:0xf
	v_min_i32_e32 v2, v3, v2
	s_nop 1
	;; [unrolled: 3-line block ×3, first 2 shown]
	v_mov_b32_dpp v3, v2 row_shr:8 row_mask:0xf bank_mask:0xc
	v_min_i32_e32 v2, v3, v2
	v_cmp_gt_i32_e32 vcc, s11, v2
	s_and_b64 s[22:23], s[0:1], vcc
	s_and_saveexec_b64 s[20:21], s[22:23]
	s_cbranch_execz .LBB11_18
; %bb.17:                               ;   in Loop: Header=BB11_7 Depth=1
	v_add_u32_e32 v3, s39, v10
	v_ashrrev_i32_e32 v4, 31, v3
	v_lshlrev_b64 v[3:4], 2, v[3:4]
	v_add_u32_e32 v11, 1, v10
	s_waitcnt lgkmcnt(0)
	v_mov_b32_e32 v10, s7
	v_add_co_u32_e32 v3, vcc, s6, v3
	v_addc_co_u32_e32 v4, vcc, v10, v4, vcc
	v_add_u32_e32 v10, s33, v2
	global_store_dword v[3:4], v10, off
	v_mov_b32_e32 v10, v11
.LBB11_18:                              ;   in Loop: Header=BB11_7 Depth=1
	s_or_b64 exec, exec, s[20:21]
	ds_bpermute_b32 v11, v8, v2
	ds_bpermute_b32 v10, v8, v10
	v_cmp_lt_i32_e32 vcc, v6, v5
	s_and_saveexec_b64 s[20:21], vcc
	s_cbranch_execz .LBB11_6
; %bb.19:                               ;   in Loop: Header=BB11_7 Depth=1
	s_waitcnt lgkmcnt(0)
	v_add_u32_e32 v2, s41, v10
	v_mad_u64_u32 v[2:3], s[22:23], v2, s12, v[0:1]
	v_add_u32_e32 v3, v7, v6
	v_mul_lo_u32 v13, v11, s13
	v_mad_u64_u32 v[3:4], s[22:23], s8, v3, v[1:2]
	v_mul_lo_u32 v12, v2, s13
	s_mov_b64 s[22:23], 0
	v_mul_lo_u32 v14, s9, v3
	v_mov_b32_e32 v2, v6
	s_branch .LBB11_21
.LBB11_20:                              ;   in Loop: Header=BB11_21 Depth=2
	s_or_b64 exec, exec, s[28:29]
	s_and_b64 s[24:25], exec, s[24:25]
	s_or_b64 s[22:23], s[24:25], s[22:23]
	s_andn2_b64 exec, exec, s[22:23]
	s_cbranch_execz .LBB11_6
.LBB11_21:                              ;   Parent Loop BB11_7 Depth=1
                                        ; =>  This Loop Header: Depth=2
                                        ;       Child Loop BB11_24 Depth 3
	s_mov_b64 s[24:25], -1
	s_and_b64 vcc, exec, s[2:3]
	s_mov_b64 s[26:27], -1
	s_cbranch_vccnz .LBB11_29
; %bb.22:                               ;   in Loop: Header=BB11_21 Depth=2
	v_ashrrev_i32_e32 v3, 31, v2
	v_lshlrev_b64 v[3:4], 2, v[2:3]
	v_mov_b32_e32 v15, s19
	v_add_co_u32_e32 v3, vcc, s18, v3
	v_addc_co_u32_e32 v4, vcc, v15, v4, vcc
	global_load_dword v3, v[3:4], off
	s_mov_b64 s[28:29], 0
	s_mov_b32 s43, s9
                                        ; implicit-def: $sgpr26_sgpr27
	s_waitcnt vmcnt(0)
	v_subrev_u32_e32 v3, s38, v3
	v_mul_lo_u32 v15, v3, s9
	v_mov_b32_e32 v3, v14
	s_branch .LBB11_24
.LBB11_23:                              ;   in Loop: Header=BB11_24 Depth=3
	s_or_b64 exec, exec, s[36:37]
	s_xor_b64 s[34:35], s[34:35], -1
	s_and_b64 s[30:31], exec, s[30:31]
	s_or_b64 s[28:29], s[30:31], s[28:29]
	s_andn2_b64 s[26:27], s[26:27], exec
	s_and_b64 s[30:31], s[34:35], exec
	s_or_b64 s[26:27], s[26:27], s[30:31]
	s_andn2_b64 exec, exec, s[28:29]
	s_cbranch_execz .LBB11_28
.LBB11_24:                              ;   Parent Loop BB11_7 Depth=1
                                        ;     Parent Loop BB11_21 Depth=2
                                        ; =>    This Inner Loop Header: Depth=3
	v_sub_u32_e32 v4, 0, v15
	v_max_i32_e32 v4, v15, v4
	v_mul_hi_u32 v16, v4, v9
	v_ashrrev_i32_e32 v18, 31, v15
	v_xor_b32_e32 v18, s42, v18
	v_mul_lo_u32 v17, v16, s10
	v_add_u32_e32 v19, 1, v16
	v_sub_u32_e32 v4, v4, v17
	v_cmp_le_u32_e32 vcc, s10, v4
	v_subrev_u32_e32 v17, s10, v4
	v_cndmask_b32_e32 v16, v16, v19, vcc
	v_cndmask_b32_e32 v4, v4, v17, vcc
	v_add_u32_e32 v17, 1, v16
	v_cmp_le_u32_e32 vcc, s10, v4
	v_cndmask_b32_e32 v4, v16, v17, vcc
	v_xor_b32_e32 v4, v4, v18
	v_sub_u32_e32 v16, v4, v18
	v_cmp_eq_u32_e32 vcc, v16, v11
	s_and_saveexec_b64 s[30:31], vcc
	s_cbranch_execz .LBB11_26
; %bb.25:                               ;   in Loop: Header=BB11_24 Depth=3
	v_ashrrev_i32_e32 v4, 31, v3
	v_lshlrev_b64 v[17:18], 2, v[3:4]
	v_mov_b32_e32 v4, s17
	v_add_co_u32_e32 v17, vcc, s16, v17
	v_addc_co_u32_e32 v18, vcc, v4, v18, vcc
	global_load_dword v4, v[17:18], off
	v_sub_u32_e32 v17, v15, v13
	v_add_u32_e32 v17, v17, v12
	v_ashrrev_i32_e32 v18, 31, v17
	v_lshlrev_b64 v[17:18], 2, v[17:18]
	v_mov_b32_e32 v19, s15
	v_add_co_u32_e32 v17, vcc, s14, v17
	v_addc_co_u32_e32 v18, vcc, v19, v18, vcc
	s_waitcnt vmcnt(0)
	global_store_dword v[17:18], v4, off
.LBB11_26:                              ;   in Loop: Header=BB11_24 Depth=3
	s_or_b64 exec, exec, s[30:31]
	v_cmp_le_i32_e32 vcc, v16, v11
	s_mov_b64 s[30:31], -1
	s_mov_b64 s[34:35], -1
	s_and_saveexec_b64 s[36:37], vcc
	s_cbranch_execz .LBB11_23
; %bb.27:                               ;   in Loop: Header=BB11_24 Depth=3
	s_add_i32 s43, s43, -1
	s_cmp_eq_u32 s43, 0
	s_cselect_b64 s[30:31], -1, 0
	v_add_u32_e32 v15, 1, v15
	v_add_u32_e32 v3, 1, v3
	s_xor_b64 s[34:35], exec, -1
	s_orn2_b64 s[30:31], s[30:31], exec
	s_branch .LBB11_23
.LBB11_28:                              ;   in Loop: Header=BB11_21 Depth=2
	s_or_b64 exec, exec, s[28:29]
.LBB11_29:                              ;   in Loop: Header=BB11_21 Depth=2
	s_and_saveexec_b64 s[28:29], s[26:27]
	s_cbranch_execz .LBB11_20
; %bb.30:                               ;   in Loop: Header=BB11_21 Depth=2
	v_add_u32_e32 v2, 1, v2
	v_cmp_ge_i32_e32 vcc, v2, v5
	v_add_u32_e32 v14, s40, v14
	s_orn2_b64 s[24:25], vcc, exec
	s_branch .LBB11_20
.LBB11_31:
	s_endpgm
	.section	.rodata,"a",@progbits
	.p2align	6, 0x0
	.amdhsa_kernel _ZN9rocsparseL23gebsr2gebsr_fast_kernelIL20rocsparse_direction_0ELi16ELi16EfEEvii21rocsparse_index_base_PKT2_PKiS7_iiiiS2_PS3_PiS9_ii
		.amdhsa_group_segment_fixed_size 0
		.amdhsa_private_segment_fixed_size 0
		.amdhsa_kernarg_size 96
		.amdhsa_user_sgpr_count 6
		.amdhsa_user_sgpr_private_segment_buffer 1
		.amdhsa_user_sgpr_dispatch_ptr 0
		.amdhsa_user_sgpr_queue_ptr 0
		.amdhsa_user_sgpr_kernarg_segment_ptr 1
		.amdhsa_user_sgpr_dispatch_id 0
		.amdhsa_user_sgpr_flat_scratch_init 0
		.amdhsa_user_sgpr_private_segment_size 0
		.amdhsa_uses_dynamic_stack 0
		.amdhsa_system_sgpr_private_segment_wavefront_offset 0
		.amdhsa_system_sgpr_workgroup_id_x 1
		.amdhsa_system_sgpr_workgroup_id_y 0
		.amdhsa_system_sgpr_workgroup_id_z 0
		.amdhsa_system_sgpr_workgroup_info 0
		.amdhsa_system_vgpr_workitem_id 0
		.amdhsa_next_free_vgpr 20
		.amdhsa_next_free_sgpr 44
		.amdhsa_reserve_vcc 1
		.amdhsa_reserve_flat_scratch 0
		.amdhsa_float_round_mode_32 0
		.amdhsa_float_round_mode_16_64 0
		.amdhsa_float_denorm_mode_32 3
		.amdhsa_float_denorm_mode_16_64 3
		.amdhsa_dx10_clamp 1
		.amdhsa_ieee_mode 1
		.amdhsa_fp16_overflow 0
		.amdhsa_exception_fp_ieee_invalid_op 0
		.amdhsa_exception_fp_denorm_src 0
		.amdhsa_exception_fp_ieee_div_zero 0
		.amdhsa_exception_fp_ieee_overflow 0
		.amdhsa_exception_fp_ieee_underflow 0
		.amdhsa_exception_fp_ieee_inexact 0
		.amdhsa_exception_int_div_zero 0
	.end_amdhsa_kernel
	.section	.text._ZN9rocsparseL23gebsr2gebsr_fast_kernelIL20rocsparse_direction_0ELi16ELi16EfEEvii21rocsparse_index_base_PKT2_PKiS7_iiiiS2_PS3_PiS9_ii,"axG",@progbits,_ZN9rocsparseL23gebsr2gebsr_fast_kernelIL20rocsparse_direction_0ELi16ELi16EfEEvii21rocsparse_index_base_PKT2_PKiS7_iiiiS2_PS3_PiS9_ii,comdat
.Lfunc_end11:
	.size	_ZN9rocsparseL23gebsr2gebsr_fast_kernelIL20rocsparse_direction_0ELi16ELi16EfEEvii21rocsparse_index_base_PKT2_PKiS7_iiiiS2_PS3_PiS9_ii, .Lfunc_end11-_ZN9rocsparseL23gebsr2gebsr_fast_kernelIL20rocsparse_direction_0ELi16ELi16EfEEvii21rocsparse_index_base_PKT2_PKiS7_iiiiS2_PS3_PiS9_ii
                                        ; -- End function
	.set _ZN9rocsparseL23gebsr2gebsr_fast_kernelIL20rocsparse_direction_0ELi16ELi16EfEEvii21rocsparse_index_base_PKT2_PKiS7_iiiiS2_PS3_PiS9_ii.num_vgpr, 20
	.set _ZN9rocsparseL23gebsr2gebsr_fast_kernelIL20rocsparse_direction_0ELi16ELi16EfEEvii21rocsparse_index_base_PKT2_PKiS7_iiiiS2_PS3_PiS9_ii.num_agpr, 0
	.set _ZN9rocsparseL23gebsr2gebsr_fast_kernelIL20rocsparse_direction_0ELi16ELi16EfEEvii21rocsparse_index_base_PKT2_PKiS7_iiiiS2_PS3_PiS9_ii.numbered_sgpr, 44
	.set _ZN9rocsparseL23gebsr2gebsr_fast_kernelIL20rocsparse_direction_0ELi16ELi16EfEEvii21rocsparse_index_base_PKT2_PKiS7_iiiiS2_PS3_PiS9_ii.num_named_barrier, 0
	.set _ZN9rocsparseL23gebsr2gebsr_fast_kernelIL20rocsparse_direction_0ELi16ELi16EfEEvii21rocsparse_index_base_PKT2_PKiS7_iiiiS2_PS3_PiS9_ii.private_seg_size, 0
	.set _ZN9rocsparseL23gebsr2gebsr_fast_kernelIL20rocsparse_direction_0ELi16ELi16EfEEvii21rocsparse_index_base_PKT2_PKiS7_iiiiS2_PS3_PiS9_ii.uses_vcc, 1
	.set _ZN9rocsparseL23gebsr2gebsr_fast_kernelIL20rocsparse_direction_0ELi16ELi16EfEEvii21rocsparse_index_base_PKT2_PKiS7_iiiiS2_PS3_PiS9_ii.uses_flat_scratch, 0
	.set _ZN9rocsparseL23gebsr2gebsr_fast_kernelIL20rocsparse_direction_0ELi16ELi16EfEEvii21rocsparse_index_base_PKT2_PKiS7_iiiiS2_PS3_PiS9_ii.has_dyn_sized_stack, 0
	.set _ZN9rocsparseL23gebsr2gebsr_fast_kernelIL20rocsparse_direction_0ELi16ELi16EfEEvii21rocsparse_index_base_PKT2_PKiS7_iiiiS2_PS3_PiS9_ii.has_recursion, 0
	.set _ZN9rocsparseL23gebsr2gebsr_fast_kernelIL20rocsparse_direction_0ELi16ELi16EfEEvii21rocsparse_index_base_PKT2_PKiS7_iiiiS2_PS3_PiS9_ii.has_indirect_call, 0
	.section	.AMDGPU.csdata,"",@progbits
; Kernel info:
; codeLenInByte = 1480
; TotalNumSgprs: 48
; NumVgprs: 20
; ScratchSize: 0
; MemoryBound: 0
; FloatMode: 240
; IeeeMode: 1
; LDSByteSize: 0 bytes/workgroup (compile time only)
; SGPRBlocks: 5
; VGPRBlocks: 4
; NumSGPRsForWavesPerEU: 48
; NumVGPRsForWavesPerEU: 20
; Occupancy: 10
; WaveLimiterHint : 0
; COMPUTE_PGM_RSRC2:SCRATCH_EN: 0
; COMPUTE_PGM_RSRC2:USER_SGPR: 6
; COMPUTE_PGM_RSRC2:TRAP_HANDLER: 0
; COMPUTE_PGM_RSRC2:TGID_X_EN: 1
; COMPUTE_PGM_RSRC2:TGID_Y_EN: 0
; COMPUTE_PGM_RSRC2:TGID_Z_EN: 0
; COMPUTE_PGM_RSRC2:TIDIG_COMP_CNT: 0
	.section	.text._ZN9rocsparseL23gebsr2gebsr_fast_kernelIL20rocsparse_direction_0ELi32ELi32EfEEvii21rocsparse_index_base_PKT2_PKiS7_iiiiS2_PS3_PiS9_ii,"axG",@progbits,_ZN9rocsparseL23gebsr2gebsr_fast_kernelIL20rocsparse_direction_0ELi32ELi32EfEEvii21rocsparse_index_base_PKT2_PKiS7_iiiiS2_PS3_PiS9_ii,comdat
	.globl	_ZN9rocsparseL23gebsr2gebsr_fast_kernelIL20rocsparse_direction_0ELi32ELi32EfEEvii21rocsparse_index_base_PKT2_PKiS7_iiiiS2_PS3_PiS9_ii ; -- Begin function _ZN9rocsparseL23gebsr2gebsr_fast_kernelIL20rocsparse_direction_0ELi32ELi32EfEEvii21rocsparse_index_base_PKT2_PKiS7_iiiiS2_PS3_PiS9_ii
	.p2align	8
	.type	_ZN9rocsparseL23gebsr2gebsr_fast_kernelIL20rocsparse_direction_0ELi32ELi32EfEEvii21rocsparse_index_base_PKT2_PKiS7_iiiiS2_PS3_PiS9_ii,@function
_ZN9rocsparseL23gebsr2gebsr_fast_kernelIL20rocsparse_direction_0ELi32ELi32EfEEvii21rocsparse_index_base_PKT2_PKiS7_iiiiS2_PS3_PiS9_ii: ; @_ZN9rocsparseL23gebsr2gebsr_fast_kernelIL20rocsparse_direction_0ELi32ELi32EfEEvii21rocsparse_index_base_PKT2_PKiS7_iiiiS2_PS3_PiS9_ii
; %bb.0:
	s_load_dwordx4 s[8:11], s[4:5], 0x28
	s_load_dword s33, s[4:5], 0x38
	s_load_dwordx2 s[12:13], s[4:5], 0x58
	s_load_dword s3, s[4:5], 0x0
	s_load_dword s38, s[4:5], 0x8
	s_mov_b32 s39, 0
	s_waitcnt lgkmcnt(0)
	s_abs_i32 s2, s8
	v_cvt_f32_u32_e32 v1, s2
	s_sub_i32 s0, 0, s2
	v_cmp_gt_i32_e32 vcc, s12, v0
	v_mov_b32_e32 v5, 0
	v_rcp_iflag_f32_e32 v1, v1
	v_mul_f32_e32 v1, 0x4f7ffffe, v1
	v_cvt_u32_f32_e32 v2, v1
	v_mul_lo_u32 v1, s0, v2
	s_mul_i32 s0, s12, s6
	v_mul_hi_u32 v3, v2, v1
	v_add_u32_e32 v1, s0, v0
	v_sub_u32_e32 v4, 0, v1
	v_max_i32_e32 v6, v1, v4
	v_add_u32_e32 v2, v2, v3
	v_mul_hi_u32 v2, v6, v2
	v_xor_b32_e32 v4, s8, v1
	v_ashrrev_i32_e32 v4, 31, v4
	v_mul_lo_u32 v3, v2, s2
	v_add_u32_e32 v7, 1, v2
	v_sub_u32_e32 v3, v6, v3
	v_cmp_le_u32_e64 s[0:1], s2, v3
	v_subrev_u32_e32 v6, s2, v3
	v_cndmask_b32_e64 v2, v2, v7, s[0:1]
	v_cndmask_b32_e64 v3, v3, v6, s[0:1]
	v_add_u32_e32 v6, 1, v2
	v_cmp_le_u32_e64 s[0:1], s2, v3
	v_cndmask_b32_e64 v2, v2, v6, s[0:1]
	v_xor_b32_e32 v7, v2, v4
	v_sub_u32_e32 v2, v7, v4
	v_cmp_gt_i32_e64 s[0:1], s3, v2
	s_and_b64 s[2:3], vcc, s[0:1]
	v_mov_b32_e32 v6, 0
	s_and_saveexec_b64 s[0:1], s[2:3]
	s_cbranch_execnz .LBB12_3
; %bb.1:
	s_or_b64 exec, exec, s[0:1]
	s_cmp_ge_i32 s6, s10
	s_cbranch_scc0 .LBB12_4
.LBB12_2:
	s_cmp_lt_i32 s11, 1
	s_cbranch_scc0 .LBB12_5
	s_branch .LBB12_31
.LBB12_3:
	s_load_dwordx2 s[2:3], s[4:5], 0x18
	v_ashrrev_i32_e32 v3, 31, v2
	v_lshlrev_b64 v[2:3], 2, v[2:3]
	s_waitcnt lgkmcnt(0)
	v_mov_b32_e32 v5, s3
	v_add_co_u32_e32 v2, vcc, s2, v2
	v_addc_co_u32_e32 v3, vcc, v5, v3, vcc
	global_load_dwordx2 v[2:3], v[2:3], off
	s_waitcnt vmcnt(0)
	v_subrev_u32_e32 v6, s38, v2
	v_subrev_u32_e32 v5, s38, v3
	s_or_b64 exec, exec, s[0:1]
	s_cmp_ge_i32 s6, s10
	s_cbranch_scc1 .LBB12_2
.LBB12_4:
	s_load_dwordx2 s[0:1], s[4:5], 0x48
	s_ashr_i32 s7, s6, 31
	s_lshl_b64 s[2:3], s[6:7], 2
	s_waitcnt lgkmcnt(0)
	s_add_u32 s0, s0, s2
	s_addc_u32 s1, s1, s3
	s_load_dword s0, s[0:1], 0x0
	s_waitcnt lgkmcnt(0)
	s_sub_i32 s39, s0, s33
	s_cmp_lt_i32 s11, 1
	s_cbranch_scc1 .LBB12_31
.LBB12_5:
	s_cmp_gt_i32 s9, 0
	s_cselect_b64 s[2:3], -1, 0
	s_abs_i32 s10, s13
	v_cvt_f32_u32_e32 v2, s10
	s_load_dwordx2 s[6:7], s[4:5], 0x50
	s_load_dwordx2 s[14:15], s[4:5], 0x40
	;; [unrolled: 1-line block ×4, first 2 shown]
	s_sub_i32 s4, 0, s10
	v_sub_u32_e32 v7, v4, v7
	v_rcp_iflag_f32_e32 v2, v2
	v_mbcnt_lo_u32_b32 v3, -1, 0
	v_mov_b32_e32 v8, 0x7c
	v_mbcnt_hi_u32_b32 v3, -1, v3
	v_mul_f32_e32 v2, 0x4f7ffffe, v2
	v_cvt_u32_f32_e32 v2, v2
	v_cmp_eq_u32_e64 s[0:1], 31, v0
	s_mul_i32 s40, s9, s8
	s_add_i32 s41, s39, -1
	v_mul_lo_u32 v9, s4, v2
	s_ashr_i32 s42, s13, 31
	v_lshl_or_b32 v8, v3, 2, v8
	s_mov_b64 s[4:5], 0
	v_mul_hi_u32 v4, v2, v9
	v_mov_b32_e32 v10, 0
	v_add_u32_e32 v9, v2, v4
	v_cndmask_b32_e64 v2, 0, 1, s[2:3]
	v_mov_b32_e32 v4, 0
	v_cmp_ne_u32_e64 s[2:3], 1, v2
	s_branch .LBB12_7
.LBB12_6:                               ;   in Loop: Header=BB12_7 Depth=1
	s_or_b64 exec, exec, s[20:21]
	s_waitcnt lgkmcnt(0)
	v_add_u32_e32 v4, 1, v11
	v_cmp_le_i32_e32 vcc, s11, v4
	s_or_b64 s[4:5], vcc, s[4:5]
	s_andn2_b64 exec, exec, s[4:5]
	s_cbranch_execz .LBB12_31
.LBB12_7:                               ; =>This Loop Header: Depth=1
                                        ;     Child Loop BB12_11 Depth 2
                                        ;       Child Loop BB12_13 Depth 3
                                        ;     Child Loop BB12_21 Depth 2
                                        ;       Child Loop BB12_24 Depth 3
	v_cmp_lt_i32_e32 vcc, v6, v5
	v_mov_b32_e32 v11, s11
	s_and_saveexec_b64 s[20:21], vcc
	s_cbranch_execz .LBB12_16
; %bb.8:                                ;   in Loop: Header=BB12_7 Depth=1
	s_mov_b64 s[22:23], 0
	v_mov_b32_e32 v11, s11
	v_mov_b32_e32 v2, v6
	s_branch .LBB12_11
.LBB12_9:                               ;   in Loop: Header=BB12_11 Depth=2
	s_mov_b64 s[24:25], 0
.LBB12_10:                              ;   in Loop: Header=BB12_11 Depth=2
	v_add_u32_e32 v2, 1, v2
	v_cmp_ge_i32_e32 vcc, v2, v5
	s_or_b64 s[24:25], s[24:25], vcc
	s_and_b64 s[24:25], exec, s[24:25]
	s_or_b64 s[22:23], s[24:25], s[22:23]
	s_andn2_b64 exec, exec, s[22:23]
	s_cbranch_execz .LBB12_15
.LBB12_11:                              ;   Parent Loop BB12_7 Depth=1
                                        ; =>  This Loop Header: Depth=2
                                        ;       Child Loop BB12_13 Depth 3
	s_and_b64 vcc, exec, s[2:3]
	s_cbranch_vccnz .LBB12_9
; %bb.12:                               ;   in Loop: Header=BB12_11 Depth=2
	v_ashrrev_i32_e32 v3, 31, v2
	v_lshlrev_b64 v[12:13], 2, v[2:3]
	s_waitcnt lgkmcnt(0)
	v_mov_b32_e32 v3, s19
	v_add_co_u32_e32 v12, vcc, s18, v12
	v_addc_co_u32_e32 v13, vcc, v3, v13, vcc
	global_load_dword v3, v[12:13], off
	s_mov_b32 s30, 0
	s_mov_b64 s[28:29], 0
	s_mov_b64 s[26:27], 0
                                        ; implicit-def: $sgpr24_sgpr25
	s_waitcnt vmcnt(0)
	v_subrev_u32_e32 v3, s38, v3
	v_mul_lo_u32 v3, v3, s9
.LBB12_13:                              ;   Parent Loop BB12_7 Depth=1
                                        ;     Parent Loop BB12_11 Depth=2
                                        ; =>    This Inner Loop Header: Depth=3
	v_add_u32_e32 v12, s30, v3
	v_sub_u32_e32 v14, 0, v12
	v_ashrrev_i32_e32 v13, 31, v12
	v_max_i32_e32 v12, v12, v14
	v_mul_hi_u32 v14, v12, v9
	v_xor_b32_e32 v13, s42, v13
	s_add_i32 s30, s30, 1
	v_mul_lo_u32 v15, v14, s10
	v_add_u32_e32 v16, 1, v14
	v_sub_u32_e32 v12, v12, v15
	v_cmp_le_u32_e32 vcc, s10, v12
	v_subrev_u32_e32 v15, s10, v12
	v_cndmask_b32_e32 v14, v14, v16, vcc
	v_cndmask_b32_e32 v12, v12, v15, vcc
	v_add_u32_e32 v15, 1, v14
	v_cmp_le_u32_e32 vcc, s10, v12
	v_cndmask_b32_e32 v12, v14, v15, vcc
	v_xor_b32_e32 v12, v12, v13
	v_sub_u32_e32 v12, v12, v13
	v_cmp_ge_i32_e32 vcc, v12, v4
	s_or_b64 s[28:29], vcc, s[28:29]
	s_cmp_ge_i32 s30, s9
	s_cselect_b64 s[34:35], -1, 0
	s_or_b64 s[34:35], vcc, s[34:35]
	s_and_b64 s[34:35], exec, s[34:35]
	s_or_b64 s[26:27], s[34:35], s[26:27]
	s_andn2_b64 s[24:25], s[24:25], exec
	s_and_b64 s[34:35], s[28:29], exec
	v_cndmask_b32_e32 v11, v11, v12, vcc
	v_cndmask_b32_e32 v6, v6, v2, vcc
	s_or_b64 s[24:25], s[24:25], s[34:35]
	s_andn2_b64 exec, exec, s[26:27]
	s_cbranch_execnz .LBB12_13
; %bb.14:                               ;   in Loop: Header=BB12_11 Depth=2
	s_or_b64 exec, exec, s[26:27]
	s_branch .LBB12_10
.LBB12_15:                              ;   in Loop: Header=BB12_7 Depth=1
	s_or_b64 exec, exec, s[22:23]
.LBB12_16:                              ;   in Loop: Header=BB12_7 Depth=1
	s_or_b64 exec, exec, s[20:21]
	v_mov_b32_dpp v2, v11 row_shr:1 row_mask:0xf bank_mask:0xf
	v_min_i32_e32 v2, v2, v11
	s_nop 1
	v_mov_b32_dpp v3, v2 row_shr:2 row_mask:0xf bank_mask:0xf
	v_min_i32_e32 v2, v3, v2
	s_nop 1
	;; [unrolled: 3-line block ×4, first 2 shown]
	v_mov_b32_dpp v3, v2 row_bcast:15 row_mask:0xa bank_mask:0xf
	v_min_i32_e32 v2, v3, v2
	v_cmp_gt_i32_e32 vcc, s11, v2
	s_and_b64 s[22:23], s[0:1], vcc
	s_and_saveexec_b64 s[20:21], s[22:23]
	s_cbranch_execz .LBB12_18
; %bb.17:                               ;   in Loop: Header=BB12_7 Depth=1
	v_add_u32_e32 v3, s39, v10
	v_ashrrev_i32_e32 v4, 31, v3
	v_lshlrev_b64 v[3:4], 2, v[3:4]
	v_add_u32_e32 v11, 1, v10
	s_waitcnt lgkmcnt(0)
	v_mov_b32_e32 v10, s7
	v_add_co_u32_e32 v3, vcc, s6, v3
	v_addc_co_u32_e32 v4, vcc, v10, v4, vcc
	v_add_u32_e32 v10, s33, v2
	global_store_dword v[3:4], v10, off
	v_mov_b32_e32 v10, v11
.LBB12_18:                              ;   in Loop: Header=BB12_7 Depth=1
	s_or_b64 exec, exec, s[20:21]
	ds_bpermute_b32 v11, v8, v2
	ds_bpermute_b32 v10, v8, v10
	v_cmp_lt_i32_e32 vcc, v6, v5
	s_and_saveexec_b64 s[20:21], vcc
	s_cbranch_execz .LBB12_6
; %bb.19:                               ;   in Loop: Header=BB12_7 Depth=1
	s_waitcnt lgkmcnt(0)
	v_add_u32_e32 v2, s41, v10
	v_mad_u64_u32 v[2:3], s[22:23], v2, s12, v[0:1]
	v_add_u32_e32 v3, v7, v6
	v_mul_lo_u32 v13, v11, s13
	v_mad_u64_u32 v[3:4], s[22:23], s8, v3, v[1:2]
	v_mul_lo_u32 v12, v2, s13
	s_mov_b64 s[22:23], 0
	v_mul_lo_u32 v14, s9, v3
	v_mov_b32_e32 v2, v6
	s_branch .LBB12_21
.LBB12_20:                              ;   in Loop: Header=BB12_21 Depth=2
	s_or_b64 exec, exec, s[28:29]
	s_and_b64 s[24:25], exec, s[24:25]
	s_or_b64 s[22:23], s[24:25], s[22:23]
	s_andn2_b64 exec, exec, s[22:23]
	s_cbranch_execz .LBB12_6
.LBB12_21:                              ;   Parent Loop BB12_7 Depth=1
                                        ; =>  This Loop Header: Depth=2
                                        ;       Child Loop BB12_24 Depth 3
	s_mov_b64 s[24:25], -1
	s_and_b64 vcc, exec, s[2:3]
	s_mov_b64 s[26:27], -1
	s_cbranch_vccnz .LBB12_29
; %bb.22:                               ;   in Loop: Header=BB12_21 Depth=2
	v_ashrrev_i32_e32 v3, 31, v2
	v_lshlrev_b64 v[3:4], 2, v[2:3]
	v_mov_b32_e32 v15, s19
	v_add_co_u32_e32 v3, vcc, s18, v3
	v_addc_co_u32_e32 v4, vcc, v15, v4, vcc
	global_load_dword v3, v[3:4], off
	s_mov_b64 s[28:29], 0
	s_mov_b32 s43, s9
                                        ; implicit-def: $sgpr26_sgpr27
	s_waitcnt vmcnt(0)
	v_subrev_u32_e32 v3, s38, v3
	v_mul_lo_u32 v15, v3, s9
	v_mov_b32_e32 v3, v14
	s_branch .LBB12_24
.LBB12_23:                              ;   in Loop: Header=BB12_24 Depth=3
	s_or_b64 exec, exec, s[36:37]
	s_xor_b64 s[34:35], s[34:35], -1
	s_and_b64 s[30:31], exec, s[30:31]
	s_or_b64 s[28:29], s[30:31], s[28:29]
	s_andn2_b64 s[26:27], s[26:27], exec
	s_and_b64 s[30:31], s[34:35], exec
	s_or_b64 s[26:27], s[26:27], s[30:31]
	s_andn2_b64 exec, exec, s[28:29]
	s_cbranch_execz .LBB12_28
.LBB12_24:                              ;   Parent Loop BB12_7 Depth=1
                                        ;     Parent Loop BB12_21 Depth=2
                                        ; =>    This Inner Loop Header: Depth=3
	v_sub_u32_e32 v4, 0, v15
	v_max_i32_e32 v4, v15, v4
	v_mul_hi_u32 v16, v4, v9
	v_ashrrev_i32_e32 v18, 31, v15
	v_xor_b32_e32 v18, s42, v18
	v_mul_lo_u32 v17, v16, s10
	v_add_u32_e32 v19, 1, v16
	v_sub_u32_e32 v4, v4, v17
	v_cmp_le_u32_e32 vcc, s10, v4
	v_subrev_u32_e32 v17, s10, v4
	v_cndmask_b32_e32 v16, v16, v19, vcc
	v_cndmask_b32_e32 v4, v4, v17, vcc
	v_add_u32_e32 v17, 1, v16
	v_cmp_le_u32_e32 vcc, s10, v4
	v_cndmask_b32_e32 v4, v16, v17, vcc
	v_xor_b32_e32 v4, v4, v18
	v_sub_u32_e32 v16, v4, v18
	v_cmp_eq_u32_e32 vcc, v16, v11
	s_and_saveexec_b64 s[30:31], vcc
	s_cbranch_execz .LBB12_26
; %bb.25:                               ;   in Loop: Header=BB12_24 Depth=3
	v_ashrrev_i32_e32 v4, 31, v3
	v_lshlrev_b64 v[17:18], 2, v[3:4]
	v_mov_b32_e32 v4, s17
	v_add_co_u32_e32 v17, vcc, s16, v17
	v_addc_co_u32_e32 v18, vcc, v4, v18, vcc
	global_load_dword v4, v[17:18], off
	v_sub_u32_e32 v17, v15, v13
	v_add_u32_e32 v17, v17, v12
	v_ashrrev_i32_e32 v18, 31, v17
	v_lshlrev_b64 v[17:18], 2, v[17:18]
	v_mov_b32_e32 v19, s15
	v_add_co_u32_e32 v17, vcc, s14, v17
	v_addc_co_u32_e32 v18, vcc, v19, v18, vcc
	s_waitcnt vmcnt(0)
	global_store_dword v[17:18], v4, off
.LBB12_26:                              ;   in Loop: Header=BB12_24 Depth=3
	s_or_b64 exec, exec, s[30:31]
	v_cmp_le_i32_e32 vcc, v16, v11
	s_mov_b64 s[30:31], -1
	s_mov_b64 s[34:35], -1
	s_and_saveexec_b64 s[36:37], vcc
	s_cbranch_execz .LBB12_23
; %bb.27:                               ;   in Loop: Header=BB12_24 Depth=3
	s_add_i32 s43, s43, -1
	s_cmp_eq_u32 s43, 0
	s_cselect_b64 s[30:31], -1, 0
	v_add_u32_e32 v15, 1, v15
	v_add_u32_e32 v3, 1, v3
	s_xor_b64 s[34:35], exec, -1
	s_orn2_b64 s[30:31], s[30:31], exec
	s_branch .LBB12_23
.LBB12_28:                              ;   in Loop: Header=BB12_21 Depth=2
	s_or_b64 exec, exec, s[28:29]
.LBB12_29:                              ;   in Loop: Header=BB12_21 Depth=2
	s_and_saveexec_b64 s[28:29], s[26:27]
	s_cbranch_execz .LBB12_20
; %bb.30:                               ;   in Loop: Header=BB12_21 Depth=2
	v_add_u32_e32 v2, 1, v2
	v_cmp_ge_i32_e32 vcc, v2, v5
	v_add_u32_e32 v14, s40, v14
	s_orn2_b64 s[24:25], vcc, exec
	s_branch .LBB12_20
.LBB12_31:
	s_endpgm
	.section	.rodata,"a",@progbits
	.p2align	6, 0x0
	.amdhsa_kernel _ZN9rocsparseL23gebsr2gebsr_fast_kernelIL20rocsparse_direction_0ELi32ELi32EfEEvii21rocsparse_index_base_PKT2_PKiS7_iiiiS2_PS3_PiS9_ii
		.amdhsa_group_segment_fixed_size 0
		.amdhsa_private_segment_fixed_size 0
		.amdhsa_kernarg_size 96
		.amdhsa_user_sgpr_count 6
		.amdhsa_user_sgpr_private_segment_buffer 1
		.amdhsa_user_sgpr_dispatch_ptr 0
		.amdhsa_user_sgpr_queue_ptr 0
		.amdhsa_user_sgpr_kernarg_segment_ptr 1
		.amdhsa_user_sgpr_dispatch_id 0
		.amdhsa_user_sgpr_flat_scratch_init 0
		.amdhsa_user_sgpr_private_segment_size 0
		.amdhsa_uses_dynamic_stack 0
		.amdhsa_system_sgpr_private_segment_wavefront_offset 0
		.amdhsa_system_sgpr_workgroup_id_x 1
		.amdhsa_system_sgpr_workgroup_id_y 0
		.amdhsa_system_sgpr_workgroup_id_z 0
		.amdhsa_system_sgpr_workgroup_info 0
		.amdhsa_system_vgpr_workitem_id 0
		.amdhsa_next_free_vgpr 20
		.amdhsa_next_free_sgpr 44
		.amdhsa_reserve_vcc 1
		.amdhsa_reserve_flat_scratch 0
		.amdhsa_float_round_mode_32 0
		.amdhsa_float_round_mode_16_64 0
		.amdhsa_float_denorm_mode_32 3
		.amdhsa_float_denorm_mode_16_64 3
		.amdhsa_dx10_clamp 1
		.amdhsa_ieee_mode 1
		.amdhsa_fp16_overflow 0
		.amdhsa_exception_fp_ieee_invalid_op 0
		.amdhsa_exception_fp_denorm_src 0
		.amdhsa_exception_fp_ieee_div_zero 0
		.amdhsa_exception_fp_ieee_overflow 0
		.amdhsa_exception_fp_ieee_underflow 0
		.amdhsa_exception_fp_ieee_inexact 0
		.amdhsa_exception_int_div_zero 0
	.end_amdhsa_kernel
	.section	.text._ZN9rocsparseL23gebsr2gebsr_fast_kernelIL20rocsparse_direction_0ELi32ELi32EfEEvii21rocsparse_index_base_PKT2_PKiS7_iiiiS2_PS3_PiS9_ii,"axG",@progbits,_ZN9rocsparseL23gebsr2gebsr_fast_kernelIL20rocsparse_direction_0ELi32ELi32EfEEvii21rocsparse_index_base_PKT2_PKiS7_iiiiS2_PS3_PiS9_ii,comdat
.Lfunc_end12:
	.size	_ZN9rocsparseL23gebsr2gebsr_fast_kernelIL20rocsparse_direction_0ELi32ELi32EfEEvii21rocsparse_index_base_PKT2_PKiS7_iiiiS2_PS3_PiS9_ii, .Lfunc_end12-_ZN9rocsparseL23gebsr2gebsr_fast_kernelIL20rocsparse_direction_0ELi32ELi32EfEEvii21rocsparse_index_base_PKT2_PKiS7_iiiiS2_PS3_PiS9_ii
                                        ; -- End function
	.set _ZN9rocsparseL23gebsr2gebsr_fast_kernelIL20rocsparse_direction_0ELi32ELi32EfEEvii21rocsparse_index_base_PKT2_PKiS7_iiiiS2_PS3_PiS9_ii.num_vgpr, 20
	.set _ZN9rocsparseL23gebsr2gebsr_fast_kernelIL20rocsparse_direction_0ELi32ELi32EfEEvii21rocsparse_index_base_PKT2_PKiS7_iiiiS2_PS3_PiS9_ii.num_agpr, 0
	.set _ZN9rocsparseL23gebsr2gebsr_fast_kernelIL20rocsparse_direction_0ELi32ELi32EfEEvii21rocsparse_index_base_PKT2_PKiS7_iiiiS2_PS3_PiS9_ii.numbered_sgpr, 44
	.set _ZN9rocsparseL23gebsr2gebsr_fast_kernelIL20rocsparse_direction_0ELi32ELi32EfEEvii21rocsparse_index_base_PKT2_PKiS7_iiiiS2_PS3_PiS9_ii.num_named_barrier, 0
	.set _ZN9rocsparseL23gebsr2gebsr_fast_kernelIL20rocsparse_direction_0ELi32ELi32EfEEvii21rocsparse_index_base_PKT2_PKiS7_iiiiS2_PS3_PiS9_ii.private_seg_size, 0
	.set _ZN9rocsparseL23gebsr2gebsr_fast_kernelIL20rocsparse_direction_0ELi32ELi32EfEEvii21rocsparse_index_base_PKT2_PKiS7_iiiiS2_PS3_PiS9_ii.uses_vcc, 1
	.set _ZN9rocsparseL23gebsr2gebsr_fast_kernelIL20rocsparse_direction_0ELi32ELi32EfEEvii21rocsparse_index_base_PKT2_PKiS7_iiiiS2_PS3_PiS9_ii.uses_flat_scratch, 0
	.set _ZN9rocsparseL23gebsr2gebsr_fast_kernelIL20rocsparse_direction_0ELi32ELi32EfEEvii21rocsparse_index_base_PKT2_PKiS7_iiiiS2_PS3_PiS9_ii.has_dyn_sized_stack, 0
	.set _ZN9rocsparseL23gebsr2gebsr_fast_kernelIL20rocsparse_direction_0ELi32ELi32EfEEvii21rocsparse_index_base_PKT2_PKiS7_iiiiS2_PS3_PiS9_ii.has_recursion, 0
	.set _ZN9rocsparseL23gebsr2gebsr_fast_kernelIL20rocsparse_direction_0ELi32ELi32EfEEvii21rocsparse_index_base_PKT2_PKiS7_iiiiS2_PS3_PiS9_ii.has_indirect_call, 0
	.section	.AMDGPU.csdata,"",@progbits
; Kernel info:
; codeLenInByte = 1504
; TotalNumSgprs: 48
; NumVgprs: 20
; ScratchSize: 0
; MemoryBound: 0
; FloatMode: 240
; IeeeMode: 1
; LDSByteSize: 0 bytes/workgroup (compile time only)
; SGPRBlocks: 5
; VGPRBlocks: 4
; NumSGPRsForWavesPerEU: 48
; NumVGPRsForWavesPerEU: 20
; Occupancy: 10
; WaveLimiterHint : 0
; COMPUTE_PGM_RSRC2:SCRATCH_EN: 0
; COMPUTE_PGM_RSRC2:USER_SGPR: 6
; COMPUTE_PGM_RSRC2:TRAP_HANDLER: 0
; COMPUTE_PGM_RSRC2:TGID_X_EN: 1
; COMPUTE_PGM_RSRC2:TGID_Y_EN: 0
; COMPUTE_PGM_RSRC2:TGID_Z_EN: 0
; COMPUTE_PGM_RSRC2:TIDIG_COMP_CNT: 0
	.section	.text._ZN9rocsparseL23gebsr2gebsr_fast_kernelIL20rocsparse_direction_1ELi16ELi2EfEEvii21rocsparse_index_base_PKT2_PKiS7_iiiiS2_PS3_PiS9_ii,"axG",@progbits,_ZN9rocsparseL23gebsr2gebsr_fast_kernelIL20rocsparse_direction_1ELi16ELi2EfEEvii21rocsparse_index_base_PKT2_PKiS7_iiiiS2_PS3_PiS9_ii,comdat
	.globl	_ZN9rocsparseL23gebsr2gebsr_fast_kernelIL20rocsparse_direction_1ELi16ELi2EfEEvii21rocsparse_index_base_PKT2_PKiS7_iiiiS2_PS3_PiS9_ii ; -- Begin function _ZN9rocsparseL23gebsr2gebsr_fast_kernelIL20rocsparse_direction_1ELi16ELi2EfEEvii21rocsparse_index_base_PKT2_PKiS7_iiiiS2_PS3_PiS9_ii
	.p2align	8
	.type	_ZN9rocsparseL23gebsr2gebsr_fast_kernelIL20rocsparse_direction_1ELi16ELi2EfEEvii21rocsparse_index_base_PKT2_PKiS7_iiiiS2_PS3_PiS9_ii,@function
_ZN9rocsparseL23gebsr2gebsr_fast_kernelIL20rocsparse_direction_1ELi16ELi2EfEEvii21rocsparse_index_base_PKT2_PKiS7_iiiiS2_PS3_PiS9_ii: ; @_ZN9rocsparseL23gebsr2gebsr_fast_kernelIL20rocsparse_direction_1ELi16ELi2EfEEvii21rocsparse_index_base_PKT2_PKiS7_iiiiS2_PS3_PiS9_ii
; %bb.0:
	s_load_dwordx4 s[8:11], s[4:5], 0x28
	s_load_dword s33, s[4:5], 0x38
	s_load_dwordx2 s[12:13], s[4:5], 0x58
	v_lshrrev_b32_e32 v4, 1, v0
	s_lshl_b32 s2, s6, 3
	s_waitcnt lgkmcnt(0)
	s_abs_i32 s3, s8
	v_cvt_f32_u32_e32 v1, s3
	s_sub_i32 s0, 0, s3
	v_and_b32_e32 v0, 1, v0
	s_load_dword s6, s[4:5], 0x0
	s_load_dword s38, s[4:5], 0x8
	v_rcp_iflag_f32_e32 v1, v1
	v_cmp_gt_i32_e32 vcc, s12, v0
	v_mov_b32_e32 v7, 0
	v_mov_b32_e32 v8, 0
	v_mul_f32_e32 v1, 0x4f7ffffe, v1
	v_cvt_u32_f32_e32 v5, v1
	v_or_b32_e32 v1, s2, v4
	v_mul_lo_u32 v6, s0, v5
	v_mad_u64_u32 v[2:3], s[0:1], v1, s12, v[0:1]
	v_mul_hi_u32 v3, v5, v6
	v_sub_u32_e32 v6, 0, v2
	v_max_i32_e32 v6, v2, v6
	v_xor_b32_e32 v2, s8, v2
	v_add_u32_e32 v3, v5, v3
	v_mul_hi_u32 v3, v6, v3
	v_ashrrev_i32_e32 v5, 31, v2
	v_mul_lo_u32 v9, v3, s3
	v_add_u32_e32 v2, 1, v3
	v_sub_u32_e32 v6, v6, v9
	v_cmp_le_u32_e64 s[0:1], s3, v6
	v_cndmask_b32_e64 v2, v3, v2, s[0:1]
	v_subrev_u32_e32 v3, s3, v6
	v_cndmask_b32_e64 v3, v6, v3, s[0:1]
	v_add_u32_e32 v6, 1, v2
	v_cmp_le_u32_e64 s[0:1], s3, v3
	v_cndmask_b32_e64 v2, v2, v6, s[0:1]
	v_xor_b32_e32 v6, v2, v5
	v_sub_u32_e32 v2, v6, v5
	s_waitcnt lgkmcnt(0)
	v_cmp_gt_i32_e64 s[0:1], s6, v2
	s_and_b64 s[6:7], vcc, s[0:1]
	v_mov_b32_e32 v9, 0
	s_and_saveexec_b64 s[0:1], s[6:7]
	s_cbranch_execnz .LBB13_3
; %bb.1:
	s_or_b64 exec, exec, s[0:1]
	v_cmp_gt_i32_e32 vcc, s10, v1
	s_and_saveexec_b64 s[0:1], vcc
	s_cbranch_execnz .LBB13_4
.LBB13_2:
	s_or_b64 exec, exec, s[0:1]
	s_cmp_lt_i32 s11, 1
	s_cbranch_scc0 .LBB13_5
	s_branch .LBB13_31
.LBB13_3:
	s_load_dwordx2 s[6:7], s[4:5], 0x18
	v_ashrrev_i32_e32 v3, 31, v2
	v_lshlrev_b64 v[2:3], 2, v[2:3]
	s_waitcnt lgkmcnt(0)
	v_mov_b32_e32 v8, s7
	v_add_co_u32_e32 v2, vcc, s6, v2
	v_addc_co_u32_e32 v3, vcc, v8, v3, vcc
	global_load_dwordx2 v[2:3], v[2:3], off
	s_waitcnt vmcnt(0)
	v_subrev_u32_e32 v9, s38, v2
	v_subrev_u32_e32 v8, s38, v3
	s_or_b64 exec, exec, s[0:1]
	v_cmp_gt_i32_e32 vcc, s10, v1
	s_and_saveexec_b64 s[0:1], vcc
	s_cbranch_execz .LBB13_2
.LBB13_4:
	s_load_dwordx2 s[6:7], s[4:5], 0x48
	v_ashrrev_i32_e32 v2, 31, v1
	v_lshlrev_b64 v[1:2], 2, v[1:2]
	s_waitcnt lgkmcnt(0)
	v_mov_b32_e32 v3, s7
	v_add_co_u32_e32 v1, vcc, s6, v1
	v_addc_co_u32_e32 v2, vcc, v3, v2, vcc
	global_load_dword v1, v[1:2], off
	s_waitcnt vmcnt(0)
	v_subrev_u32_e32 v7, s33, v1
	s_or_b64 exec, exec, s[0:1]
	s_cmp_lt_i32 s11, 1
	s_cbranch_scc1 .LBB13_31
.LBB13_5:
	s_cmp_gt_i32 s9, 0
	s_cselect_b64 s[20:21], -1, 0
	s_abs_i32 s10, s13
	v_cvt_f32_u32_e32 v1, s10
	s_sub_i32 s3, 0, s10
	s_load_dwordx2 s[6:7], s[4:5], 0x50
	s_load_dwordx2 s[14:15], s[4:5], 0x40
	;; [unrolled: 1-line block ×4, first 2 shown]
	v_add_u32_e32 v4, s2, v4
	v_rcp_iflag_f32_e32 v1, v1
	v_cmp_ne_u32_e64 s[0:1], 0, v0
	v_add_u32_e32 v10, -1, v7
	s_ashr_i32 s39, s13, 31
	v_mul_f32_e32 v1, 0x4f7ffffe, v1
	v_cvt_u32_f32_e32 v3, v1
	v_mbcnt_lo_u32_b32 v1, -1, 0
	v_mbcnt_hi_u32_b32 v11, -1, v1
	v_lshl_or_b32 v11, v11, 2, 4
	v_mul_lo_u32 v2, s3, v3
	s_mul_i32 s40, s9, s8
	s_mov_b64 s[4:5], 0
	v_mov_b32_e32 v13, 0
	v_mul_hi_u32 v12, v3, v2
	v_mad_u64_u32 v[1:2], s[2:3], s12, v4, v[0:1]
	v_sub_u32_e32 v2, v5, v6
	v_add_u32_e32 v12, v3, v12
	v_cndmask_b32_e64 v3, 0, 1, s[20:21]
	v_mov_b32_e32 v5, 0
	v_cmp_ne_u32_e64 s[2:3], 1, v3
	s_branch .LBB13_7
.LBB13_6:                               ;   in Loop: Header=BB13_7 Depth=1
	s_or_b64 exec, exec, s[20:21]
	s_waitcnt lgkmcnt(0)
	v_add_u32_e32 v5, 1, v14
	v_cmp_le_i32_e32 vcc, s11, v5
	s_or_b64 s[4:5], vcc, s[4:5]
	s_andn2_b64 exec, exec, s[4:5]
	s_cbranch_execz .LBB13_31
.LBB13_7:                               ; =>This Loop Header: Depth=1
                                        ;     Child Loop BB13_11 Depth 2
                                        ;       Child Loop BB13_13 Depth 3
                                        ;     Child Loop BB13_21 Depth 2
                                        ;       Child Loop BB13_24 Depth 3
	v_cmp_lt_i32_e32 vcc, v9, v8
	v_mov_b32_e32 v6, s11
	s_and_saveexec_b64 s[20:21], vcc
	s_cbranch_execz .LBB13_16
; %bb.8:                                ;   in Loop: Header=BB13_7 Depth=1
	s_mov_b64 s[22:23], 0
	v_mov_b32_e32 v6, s11
	v_mov_b32_e32 v3, v9
	s_branch .LBB13_11
.LBB13_9:                               ;   in Loop: Header=BB13_11 Depth=2
	s_mov_b64 s[24:25], 0
.LBB13_10:                              ;   in Loop: Header=BB13_11 Depth=2
	v_add_u32_e32 v3, 1, v3
	v_cmp_ge_i32_e32 vcc, v3, v8
	s_or_b64 s[24:25], s[24:25], vcc
	s_and_b64 s[24:25], exec, s[24:25]
	s_or_b64 s[22:23], s[24:25], s[22:23]
	s_andn2_b64 exec, exec, s[22:23]
	s_cbranch_execz .LBB13_15
.LBB13_11:                              ;   Parent Loop BB13_7 Depth=1
                                        ; =>  This Loop Header: Depth=2
                                        ;       Child Loop BB13_13 Depth 3
	s_and_b64 vcc, exec, s[2:3]
	s_cbranch_vccnz .LBB13_9
; %bb.12:                               ;   in Loop: Header=BB13_11 Depth=2
	v_ashrrev_i32_e32 v4, 31, v3
	v_lshlrev_b64 v[14:15], 2, v[3:4]
	s_waitcnt lgkmcnt(0)
	v_mov_b32_e32 v4, s19
	v_add_co_u32_e32 v14, vcc, s18, v14
	v_addc_co_u32_e32 v15, vcc, v4, v15, vcc
	global_load_dword v4, v[14:15], off
	s_mov_b32 s30, 0
	s_mov_b64 s[28:29], 0
	s_mov_b64 s[26:27], 0
                                        ; implicit-def: $sgpr24_sgpr25
	s_waitcnt vmcnt(0)
	v_subrev_u32_e32 v4, s38, v4
	v_mul_lo_u32 v4, v4, s9
.LBB13_13:                              ;   Parent Loop BB13_7 Depth=1
                                        ;     Parent Loop BB13_11 Depth=2
                                        ; =>    This Inner Loop Header: Depth=3
	v_add_u32_e32 v14, s30, v4
	v_sub_u32_e32 v16, 0, v14
	v_ashrrev_i32_e32 v15, 31, v14
	v_max_i32_e32 v14, v14, v16
	v_mul_hi_u32 v16, v14, v12
	v_xor_b32_e32 v15, s39, v15
	s_add_i32 s30, s30, 1
	v_mul_lo_u32 v17, v16, s10
	v_add_u32_e32 v18, 1, v16
	v_sub_u32_e32 v14, v14, v17
	v_cmp_le_u32_e32 vcc, s10, v14
	v_subrev_u32_e32 v17, s10, v14
	v_cndmask_b32_e32 v16, v16, v18, vcc
	v_cndmask_b32_e32 v14, v14, v17, vcc
	v_add_u32_e32 v17, 1, v16
	v_cmp_le_u32_e32 vcc, s10, v14
	v_cndmask_b32_e32 v14, v16, v17, vcc
	v_xor_b32_e32 v14, v14, v15
	v_sub_u32_e32 v14, v14, v15
	v_cmp_ge_i32_e32 vcc, v14, v5
	s_or_b64 s[28:29], vcc, s[28:29]
	s_cmp_ge_i32 s30, s9
	s_cselect_b64 s[34:35], -1, 0
	s_or_b64 s[34:35], vcc, s[34:35]
	s_and_b64 s[34:35], exec, s[34:35]
	s_or_b64 s[26:27], s[34:35], s[26:27]
	s_andn2_b64 s[24:25], s[24:25], exec
	s_and_b64 s[34:35], s[28:29], exec
	v_cndmask_b32_e32 v6, v6, v14, vcc
	v_cndmask_b32_e32 v9, v9, v3, vcc
	s_or_b64 s[24:25], s[24:25], s[34:35]
	s_andn2_b64 exec, exec, s[26:27]
	s_cbranch_execnz .LBB13_13
; %bb.14:                               ;   in Loop: Header=BB13_11 Depth=2
	s_or_b64 exec, exec, s[26:27]
	s_branch .LBB13_10
.LBB13_15:                              ;   in Loop: Header=BB13_7 Depth=1
	s_or_b64 exec, exec, s[22:23]
.LBB13_16:                              ;   in Loop: Header=BB13_7 Depth=1
	s_or_b64 exec, exec, s[20:21]
	v_mov_b32_dpp v3, v6 row_shr:1 row_mask:0xf bank_mask:0xf
	v_min_i32_e32 v3, v3, v6
	v_cmp_gt_i32_e32 vcc, s11, v3
	s_and_b64 s[22:23], s[0:1], vcc
	s_and_saveexec_b64 s[20:21], s[22:23]
	s_cbranch_execz .LBB13_18
; %bb.17:                               ;   in Loop: Header=BB13_7 Depth=1
	v_add_u32_e32 v4, v13, v7
	v_ashrrev_i32_e32 v5, 31, v4
	v_lshlrev_b64 v[4:5], 2, v[4:5]
	v_add_u32_e32 v6, 1, v13
	s_waitcnt lgkmcnt(0)
	v_mov_b32_e32 v13, s7
	v_add_co_u32_e32 v4, vcc, s6, v4
	v_addc_co_u32_e32 v5, vcc, v13, v5, vcc
	v_add_u32_e32 v13, s33, v3
	global_store_dword v[4:5], v13, off
	v_mov_b32_e32 v13, v6
.LBB13_18:                              ;   in Loop: Header=BB13_7 Depth=1
	s_or_b64 exec, exec, s[20:21]
	ds_bpermute_b32 v14, v11, v3
	ds_bpermute_b32 v13, v11, v13
	v_cmp_lt_i32_e32 vcc, v9, v8
	s_and_saveexec_b64 s[20:21], vcc
	s_cbranch_execz .LBB13_6
; %bb.19:                               ;   in Loop: Header=BB13_7 Depth=1
	v_mad_u64_u32 v[3:4], s[22:23], s9, v9, v[2:3]
	s_waitcnt lgkmcnt(0)
	v_add_u32_e32 v5, v10, v13
	v_mul_lo_u32 v15, v5, s13
	v_mul_lo_u32 v16, v14, s13
	v_mad_u64_u32 v[3:4], s[22:23], s8, v3, v[1:2]
	s_mov_b64 s[22:23], 0
	v_mov_b32_e32 v4, v9
	s_branch .LBB13_21
.LBB13_20:                              ;   in Loop: Header=BB13_21 Depth=2
	s_or_b64 exec, exec, s[28:29]
	s_and_b64 s[24:25], exec, s[24:25]
	s_or_b64 s[22:23], s[24:25], s[22:23]
	s_andn2_b64 exec, exec, s[22:23]
	s_cbranch_execz .LBB13_6
.LBB13_21:                              ;   Parent Loop BB13_7 Depth=1
                                        ; =>  This Loop Header: Depth=2
                                        ;       Child Loop BB13_24 Depth 3
	s_mov_b64 s[24:25], -1
	s_and_b64 vcc, exec, s[2:3]
	s_mov_b64 s[26:27], -1
	s_cbranch_vccnz .LBB13_29
; %bb.22:                               ;   in Loop: Header=BB13_21 Depth=2
	v_ashrrev_i32_e32 v5, 31, v4
	v_lshlrev_b64 v[5:6], 2, v[4:5]
	v_mov_b32_e32 v17, s19
	v_add_co_u32_e32 v5, vcc, s18, v5
	v_addc_co_u32_e32 v6, vcc, v17, v6, vcc
	global_load_dword v5, v[5:6], off
	s_mov_b64 s[28:29], 0
	s_mov_b32 s41, s9
                                        ; implicit-def: $sgpr26_sgpr27
	s_waitcnt vmcnt(0)
	v_subrev_u32_e32 v5, s38, v5
	v_mul_lo_u32 v17, v5, s9
	v_mov_b32_e32 v5, v3
	s_branch .LBB13_24
.LBB13_23:                              ;   in Loop: Header=BB13_24 Depth=3
	s_or_b64 exec, exec, s[36:37]
	s_xor_b64 s[34:35], s[34:35], -1
	s_and_b64 s[30:31], exec, s[30:31]
	s_or_b64 s[28:29], s[30:31], s[28:29]
	s_andn2_b64 s[26:27], s[26:27], exec
	s_and_b64 s[30:31], s[34:35], exec
	s_or_b64 s[26:27], s[26:27], s[30:31]
	s_andn2_b64 exec, exec, s[28:29]
	s_cbranch_execz .LBB13_28
.LBB13_24:                              ;   Parent Loop BB13_7 Depth=1
                                        ;     Parent Loop BB13_21 Depth=2
                                        ; =>    This Inner Loop Header: Depth=3
	v_sub_u32_e32 v6, 0, v17
	v_max_i32_e32 v6, v17, v6
	v_mul_hi_u32 v18, v6, v12
	v_ashrrev_i32_e32 v20, 31, v17
	v_xor_b32_e32 v20, s39, v20
	v_mul_lo_u32 v19, v18, s10
	v_add_u32_e32 v21, 1, v18
	v_sub_u32_e32 v6, v6, v19
	v_cmp_le_u32_e32 vcc, s10, v6
	v_subrev_u32_e32 v19, s10, v6
	v_cndmask_b32_e32 v18, v18, v21, vcc
	v_cndmask_b32_e32 v6, v6, v19, vcc
	v_add_u32_e32 v19, 1, v18
	v_cmp_le_u32_e32 vcc, s10, v6
	v_cndmask_b32_e32 v6, v18, v19, vcc
	v_xor_b32_e32 v6, v6, v20
	v_sub_u32_e32 v18, v6, v20
	v_cmp_eq_u32_e32 vcc, v18, v14
	s_and_saveexec_b64 s[30:31], vcc
	s_cbranch_execz .LBB13_26
; %bb.25:                               ;   in Loop: Header=BB13_24 Depth=3
	v_ashrrev_i32_e32 v6, 31, v5
	v_lshlrev_b64 v[19:20], 2, v[5:6]
	v_mov_b32_e32 v6, s17
	v_add_co_u32_e32 v19, vcc, s16, v19
	v_addc_co_u32_e32 v20, vcc, v6, v20, vcc
	global_load_dword v6, v[19:20], off
	v_sub_u32_e32 v19, v17, v16
	v_add_u32_e32 v19, v19, v15
	v_mad_u64_u32 v[19:20], s[34:35], v19, s12, v[0:1]
	v_mov_b32_e32 v21, s15
	v_ashrrev_i32_e32 v20, 31, v19
	v_lshlrev_b64 v[19:20], 2, v[19:20]
	v_add_co_u32_e32 v19, vcc, s14, v19
	v_addc_co_u32_e32 v20, vcc, v21, v20, vcc
	s_waitcnt vmcnt(0)
	global_store_dword v[19:20], v6, off
.LBB13_26:                              ;   in Loop: Header=BB13_24 Depth=3
	s_or_b64 exec, exec, s[30:31]
	v_cmp_le_i32_e32 vcc, v18, v14
	s_mov_b64 s[30:31], -1
	s_mov_b64 s[34:35], -1
	s_and_saveexec_b64 s[36:37], vcc
	s_cbranch_execz .LBB13_23
; %bb.27:                               ;   in Loop: Header=BB13_24 Depth=3
	s_add_i32 s41, s41, -1
	s_cmp_eq_u32 s41, 0
	s_cselect_b64 s[30:31], -1, 0
	v_add_u32_e32 v17, 1, v17
	v_add_u32_e32 v5, s8, v5
	s_xor_b64 s[34:35], exec, -1
	s_orn2_b64 s[30:31], s[30:31], exec
	s_branch .LBB13_23
.LBB13_28:                              ;   in Loop: Header=BB13_21 Depth=2
	s_or_b64 exec, exec, s[28:29]
.LBB13_29:                              ;   in Loop: Header=BB13_21 Depth=2
	s_and_saveexec_b64 s[28:29], s[26:27]
	s_cbranch_execz .LBB13_20
; %bb.30:                               ;   in Loop: Header=BB13_21 Depth=2
	v_add_u32_e32 v4, 1, v4
	v_cmp_ge_i32_e32 vcc, v4, v8
	v_add_u32_e32 v3, s40, v3
	s_orn2_b64 s[24:25], vcc, exec
	s_branch .LBB13_20
.LBB13_31:
	s_endpgm
	.section	.rodata,"a",@progbits
	.p2align	6, 0x0
	.amdhsa_kernel _ZN9rocsparseL23gebsr2gebsr_fast_kernelIL20rocsparse_direction_1ELi16ELi2EfEEvii21rocsparse_index_base_PKT2_PKiS7_iiiiS2_PS3_PiS9_ii
		.amdhsa_group_segment_fixed_size 0
		.amdhsa_private_segment_fixed_size 0
		.amdhsa_kernarg_size 96
		.amdhsa_user_sgpr_count 6
		.amdhsa_user_sgpr_private_segment_buffer 1
		.amdhsa_user_sgpr_dispatch_ptr 0
		.amdhsa_user_sgpr_queue_ptr 0
		.amdhsa_user_sgpr_kernarg_segment_ptr 1
		.amdhsa_user_sgpr_dispatch_id 0
		.amdhsa_user_sgpr_flat_scratch_init 0
		.amdhsa_user_sgpr_private_segment_size 0
		.amdhsa_uses_dynamic_stack 0
		.amdhsa_system_sgpr_private_segment_wavefront_offset 0
		.amdhsa_system_sgpr_workgroup_id_x 1
		.amdhsa_system_sgpr_workgroup_id_y 0
		.amdhsa_system_sgpr_workgroup_id_z 0
		.amdhsa_system_sgpr_workgroup_info 0
		.amdhsa_system_vgpr_workitem_id 0
		.amdhsa_next_free_vgpr 22
		.amdhsa_next_free_sgpr 42
		.amdhsa_reserve_vcc 1
		.amdhsa_reserve_flat_scratch 0
		.amdhsa_float_round_mode_32 0
		.amdhsa_float_round_mode_16_64 0
		.amdhsa_float_denorm_mode_32 3
		.amdhsa_float_denorm_mode_16_64 3
		.amdhsa_dx10_clamp 1
		.amdhsa_ieee_mode 1
		.amdhsa_fp16_overflow 0
		.amdhsa_exception_fp_ieee_invalid_op 0
		.amdhsa_exception_fp_denorm_src 0
		.amdhsa_exception_fp_ieee_div_zero 0
		.amdhsa_exception_fp_ieee_overflow 0
		.amdhsa_exception_fp_ieee_underflow 0
		.amdhsa_exception_fp_ieee_inexact 0
		.amdhsa_exception_int_div_zero 0
	.end_amdhsa_kernel
	.section	.text._ZN9rocsparseL23gebsr2gebsr_fast_kernelIL20rocsparse_direction_1ELi16ELi2EfEEvii21rocsparse_index_base_PKT2_PKiS7_iiiiS2_PS3_PiS9_ii,"axG",@progbits,_ZN9rocsparseL23gebsr2gebsr_fast_kernelIL20rocsparse_direction_1ELi16ELi2EfEEvii21rocsparse_index_base_PKT2_PKiS7_iiiiS2_PS3_PiS9_ii,comdat
.Lfunc_end13:
	.size	_ZN9rocsparseL23gebsr2gebsr_fast_kernelIL20rocsparse_direction_1ELi16ELi2EfEEvii21rocsparse_index_base_PKT2_PKiS7_iiiiS2_PS3_PiS9_ii, .Lfunc_end13-_ZN9rocsparseL23gebsr2gebsr_fast_kernelIL20rocsparse_direction_1ELi16ELi2EfEEvii21rocsparse_index_base_PKT2_PKiS7_iiiiS2_PS3_PiS9_ii
                                        ; -- End function
	.set _ZN9rocsparseL23gebsr2gebsr_fast_kernelIL20rocsparse_direction_1ELi16ELi2EfEEvii21rocsparse_index_base_PKT2_PKiS7_iiiiS2_PS3_PiS9_ii.num_vgpr, 22
	.set _ZN9rocsparseL23gebsr2gebsr_fast_kernelIL20rocsparse_direction_1ELi16ELi2EfEEvii21rocsparse_index_base_PKT2_PKiS7_iiiiS2_PS3_PiS9_ii.num_agpr, 0
	.set _ZN9rocsparseL23gebsr2gebsr_fast_kernelIL20rocsparse_direction_1ELi16ELi2EfEEvii21rocsparse_index_base_PKT2_PKiS7_iiiiS2_PS3_PiS9_ii.numbered_sgpr, 42
	.set _ZN9rocsparseL23gebsr2gebsr_fast_kernelIL20rocsparse_direction_1ELi16ELi2EfEEvii21rocsparse_index_base_PKT2_PKiS7_iiiiS2_PS3_PiS9_ii.num_named_barrier, 0
	.set _ZN9rocsparseL23gebsr2gebsr_fast_kernelIL20rocsparse_direction_1ELi16ELi2EfEEvii21rocsparse_index_base_PKT2_PKiS7_iiiiS2_PS3_PiS9_ii.private_seg_size, 0
	.set _ZN9rocsparseL23gebsr2gebsr_fast_kernelIL20rocsparse_direction_1ELi16ELi2EfEEvii21rocsparse_index_base_PKT2_PKiS7_iiiiS2_PS3_PiS9_ii.uses_vcc, 1
	.set _ZN9rocsparseL23gebsr2gebsr_fast_kernelIL20rocsparse_direction_1ELi16ELi2EfEEvii21rocsparse_index_base_PKT2_PKiS7_iiiiS2_PS3_PiS9_ii.uses_flat_scratch, 0
	.set _ZN9rocsparseL23gebsr2gebsr_fast_kernelIL20rocsparse_direction_1ELi16ELi2EfEEvii21rocsparse_index_base_PKT2_PKiS7_iiiiS2_PS3_PiS9_ii.has_dyn_sized_stack, 0
	.set _ZN9rocsparseL23gebsr2gebsr_fast_kernelIL20rocsparse_direction_1ELi16ELi2EfEEvii21rocsparse_index_base_PKT2_PKiS7_iiiiS2_PS3_PiS9_ii.has_recursion, 0
	.set _ZN9rocsparseL23gebsr2gebsr_fast_kernelIL20rocsparse_direction_1ELi16ELi2EfEEvii21rocsparse_index_base_PKT2_PKiS7_iiiiS2_PS3_PiS9_ii.has_indirect_call, 0
	.section	.AMDGPU.csdata,"",@progbits
; Kernel info:
; codeLenInByte = 1484
; TotalNumSgprs: 46
; NumVgprs: 22
; ScratchSize: 0
; MemoryBound: 0
; FloatMode: 240
; IeeeMode: 1
; LDSByteSize: 0 bytes/workgroup (compile time only)
; SGPRBlocks: 5
; VGPRBlocks: 5
; NumSGPRsForWavesPerEU: 46
; NumVGPRsForWavesPerEU: 22
; Occupancy: 10
; WaveLimiterHint : 0
; COMPUTE_PGM_RSRC2:SCRATCH_EN: 0
; COMPUTE_PGM_RSRC2:USER_SGPR: 6
; COMPUTE_PGM_RSRC2:TRAP_HANDLER: 0
; COMPUTE_PGM_RSRC2:TGID_X_EN: 1
; COMPUTE_PGM_RSRC2:TGID_Y_EN: 0
; COMPUTE_PGM_RSRC2:TGID_Z_EN: 0
; COMPUTE_PGM_RSRC2:TIDIG_COMP_CNT: 0
	.section	.text._ZN9rocsparseL23gebsr2gebsr_fast_kernelIL20rocsparse_direction_1ELi16ELi4EfEEvii21rocsparse_index_base_PKT2_PKiS7_iiiiS2_PS3_PiS9_ii,"axG",@progbits,_ZN9rocsparseL23gebsr2gebsr_fast_kernelIL20rocsparse_direction_1ELi16ELi4EfEEvii21rocsparse_index_base_PKT2_PKiS7_iiiiS2_PS3_PiS9_ii,comdat
	.globl	_ZN9rocsparseL23gebsr2gebsr_fast_kernelIL20rocsparse_direction_1ELi16ELi4EfEEvii21rocsparse_index_base_PKT2_PKiS7_iiiiS2_PS3_PiS9_ii ; -- Begin function _ZN9rocsparseL23gebsr2gebsr_fast_kernelIL20rocsparse_direction_1ELi16ELi4EfEEvii21rocsparse_index_base_PKT2_PKiS7_iiiiS2_PS3_PiS9_ii
	.p2align	8
	.type	_ZN9rocsparseL23gebsr2gebsr_fast_kernelIL20rocsparse_direction_1ELi16ELi4EfEEvii21rocsparse_index_base_PKT2_PKiS7_iiiiS2_PS3_PiS9_ii,@function
_ZN9rocsparseL23gebsr2gebsr_fast_kernelIL20rocsparse_direction_1ELi16ELi4EfEEvii21rocsparse_index_base_PKT2_PKiS7_iiiiS2_PS3_PiS9_ii: ; @_ZN9rocsparseL23gebsr2gebsr_fast_kernelIL20rocsparse_direction_1ELi16ELi4EfEEvii21rocsparse_index_base_PKT2_PKiS7_iiiiS2_PS3_PiS9_ii
; %bb.0:
	s_load_dwordx4 s[8:11], s[4:5], 0x28
	s_load_dword s33, s[4:5], 0x38
	s_load_dwordx2 s[12:13], s[4:5], 0x58
	v_lshrrev_b32_e32 v4, 2, v0
	s_lshl_b32 s2, s6, 2
	s_waitcnt lgkmcnt(0)
	s_abs_i32 s3, s8
	v_cvt_f32_u32_e32 v1, s3
	s_sub_i32 s0, 0, s3
	v_and_b32_e32 v0, 3, v0
	s_load_dword s6, s[4:5], 0x0
	s_load_dword s38, s[4:5], 0x8
	v_rcp_iflag_f32_e32 v1, v1
	v_cmp_gt_i32_e32 vcc, s12, v0
	v_mov_b32_e32 v7, 0
	v_mov_b32_e32 v8, 0
	v_mul_f32_e32 v1, 0x4f7ffffe, v1
	v_cvt_u32_f32_e32 v5, v1
	v_or_b32_e32 v1, s2, v4
	v_mul_lo_u32 v6, s0, v5
	v_mad_u64_u32 v[2:3], s[0:1], v1, s12, v[0:1]
	v_mul_hi_u32 v3, v5, v6
	v_sub_u32_e32 v6, 0, v2
	v_max_i32_e32 v6, v2, v6
	v_xor_b32_e32 v2, s8, v2
	v_add_u32_e32 v3, v5, v3
	v_mul_hi_u32 v3, v6, v3
	v_ashrrev_i32_e32 v5, 31, v2
	v_mul_lo_u32 v9, v3, s3
	v_add_u32_e32 v2, 1, v3
	v_sub_u32_e32 v6, v6, v9
	v_cmp_le_u32_e64 s[0:1], s3, v6
	v_cndmask_b32_e64 v2, v3, v2, s[0:1]
	v_subrev_u32_e32 v3, s3, v6
	v_cndmask_b32_e64 v3, v6, v3, s[0:1]
	v_add_u32_e32 v6, 1, v2
	v_cmp_le_u32_e64 s[0:1], s3, v3
	v_cndmask_b32_e64 v2, v2, v6, s[0:1]
	v_xor_b32_e32 v6, v2, v5
	v_sub_u32_e32 v2, v6, v5
	s_waitcnt lgkmcnt(0)
	v_cmp_gt_i32_e64 s[0:1], s6, v2
	s_and_b64 s[6:7], vcc, s[0:1]
	v_mov_b32_e32 v9, 0
	s_and_saveexec_b64 s[0:1], s[6:7]
	s_cbranch_execnz .LBB14_3
; %bb.1:
	s_or_b64 exec, exec, s[0:1]
	v_cmp_gt_i32_e32 vcc, s10, v1
	s_and_saveexec_b64 s[0:1], vcc
	s_cbranch_execnz .LBB14_4
.LBB14_2:
	s_or_b64 exec, exec, s[0:1]
	s_cmp_lt_i32 s11, 1
	s_cbranch_scc0 .LBB14_5
	s_branch .LBB14_31
.LBB14_3:
	s_load_dwordx2 s[6:7], s[4:5], 0x18
	v_ashrrev_i32_e32 v3, 31, v2
	v_lshlrev_b64 v[2:3], 2, v[2:3]
	s_waitcnt lgkmcnt(0)
	v_mov_b32_e32 v8, s7
	v_add_co_u32_e32 v2, vcc, s6, v2
	v_addc_co_u32_e32 v3, vcc, v8, v3, vcc
	global_load_dwordx2 v[2:3], v[2:3], off
	s_waitcnt vmcnt(0)
	v_subrev_u32_e32 v9, s38, v2
	v_subrev_u32_e32 v8, s38, v3
	s_or_b64 exec, exec, s[0:1]
	v_cmp_gt_i32_e32 vcc, s10, v1
	s_and_saveexec_b64 s[0:1], vcc
	s_cbranch_execz .LBB14_2
.LBB14_4:
	s_load_dwordx2 s[6:7], s[4:5], 0x48
	v_ashrrev_i32_e32 v2, 31, v1
	v_lshlrev_b64 v[1:2], 2, v[1:2]
	s_waitcnt lgkmcnt(0)
	v_mov_b32_e32 v3, s7
	v_add_co_u32_e32 v1, vcc, s6, v1
	v_addc_co_u32_e32 v2, vcc, v3, v2, vcc
	global_load_dword v1, v[1:2], off
	s_waitcnt vmcnt(0)
	v_subrev_u32_e32 v7, s33, v1
	s_or_b64 exec, exec, s[0:1]
	s_cmp_lt_i32 s11, 1
	s_cbranch_scc1 .LBB14_31
.LBB14_5:
	s_cmp_gt_i32 s9, 0
	s_cselect_b64 s[20:21], -1, 0
	s_abs_i32 s10, s13
	v_cvt_f32_u32_e32 v1, s10
	s_sub_i32 s3, 0, s10
	s_load_dwordx2 s[6:7], s[4:5], 0x50
	s_load_dwordx2 s[14:15], s[4:5], 0x40
	;; [unrolled: 1-line block ×4, first 2 shown]
	v_add_u32_e32 v4, s2, v4
	v_rcp_iflag_f32_e32 v1, v1
	v_cmp_eq_u32_e64 s[0:1], 3, v0
	v_add_u32_e32 v10, -1, v7
	s_ashr_i32 s39, s13, 31
	v_mul_f32_e32 v1, 0x4f7ffffe, v1
	v_cvt_u32_f32_e32 v3, v1
	v_mbcnt_lo_u32_b32 v1, -1, 0
	v_mbcnt_hi_u32_b32 v11, -1, v1
	v_lshl_or_b32 v11, v11, 2, 12
	v_mul_lo_u32 v2, s3, v3
	s_mul_i32 s40, s9, s8
	s_mov_b64 s[4:5], 0
	v_mov_b32_e32 v13, 0
	v_mul_hi_u32 v12, v3, v2
	v_mad_u64_u32 v[1:2], s[2:3], s12, v4, v[0:1]
	v_sub_u32_e32 v2, v5, v6
	v_add_u32_e32 v12, v3, v12
	v_cndmask_b32_e64 v3, 0, 1, s[20:21]
	v_mov_b32_e32 v5, 0
	v_cmp_ne_u32_e64 s[2:3], 1, v3
	s_branch .LBB14_7
.LBB14_6:                               ;   in Loop: Header=BB14_7 Depth=1
	s_or_b64 exec, exec, s[20:21]
	s_waitcnt lgkmcnt(0)
	v_add_u32_e32 v5, 1, v14
	v_cmp_le_i32_e32 vcc, s11, v5
	s_or_b64 s[4:5], vcc, s[4:5]
	s_andn2_b64 exec, exec, s[4:5]
	s_cbranch_execz .LBB14_31
.LBB14_7:                               ; =>This Loop Header: Depth=1
                                        ;     Child Loop BB14_11 Depth 2
                                        ;       Child Loop BB14_13 Depth 3
                                        ;     Child Loop BB14_21 Depth 2
                                        ;       Child Loop BB14_24 Depth 3
	v_cmp_lt_i32_e32 vcc, v9, v8
	v_mov_b32_e32 v6, s11
	s_and_saveexec_b64 s[20:21], vcc
	s_cbranch_execz .LBB14_16
; %bb.8:                                ;   in Loop: Header=BB14_7 Depth=1
	s_mov_b64 s[22:23], 0
	v_mov_b32_e32 v6, s11
	v_mov_b32_e32 v3, v9
	s_branch .LBB14_11
.LBB14_9:                               ;   in Loop: Header=BB14_11 Depth=2
	s_mov_b64 s[24:25], 0
.LBB14_10:                              ;   in Loop: Header=BB14_11 Depth=2
	v_add_u32_e32 v3, 1, v3
	v_cmp_ge_i32_e32 vcc, v3, v8
	s_or_b64 s[24:25], s[24:25], vcc
	s_and_b64 s[24:25], exec, s[24:25]
	s_or_b64 s[22:23], s[24:25], s[22:23]
	s_andn2_b64 exec, exec, s[22:23]
	s_cbranch_execz .LBB14_15
.LBB14_11:                              ;   Parent Loop BB14_7 Depth=1
                                        ; =>  This Loop Header: Depth=2
                                        ;       Child Loop BB14_13 Depth 3
	s_and_b64 vcc, exec, s[2:3]
	s_cbranch_vccnz .LBB14_9
; %bb.12:                               ;   in Loop: Header=BB14_11 Depth=2
	v_ashrrev_i32_e32 v4, 31, v3
	v_lshlrev_b64 v[14:15], 2, v[3:4]
	s_waitcnt lgkmcnt(0)
	v_mov_b32_e32 v4, s19
	v_add_co_u32_e32 v14, vcc, s18, v14
	v_addc_co_u32_e32 v15, vcc, v4, v15, vcc
	global_load_dword v4, v[14:15], off
	s_mov_b32 s30, 0
	s_mov_b64 s[28:29], 0
	s_mov_b64 s[26:27], 0
                                        ; implicit-def: $sgpr24_sgpr25
	s_waitcnt vmcnt(0)
	v_subrev_u32_e32 v4, s38, v4
	v_mul_lo_u32 v4, v4, s9
.LBB14_13:                              ;   Parent Loop BB14_7 Depth=1
                                        ;     Parent Loop BB14_11 Depth=2
                                        ; =>    This Inner Loop Header: Depth=3
	v_add_u32_e32 v14, s30, v4
	v_sub_u32_e32 v16, 0, v14
	v_ashrrev_i32_e32 v15, 31, v14
	v_max_i32_e32 v14, v14, v16
	v_mul_hi_u32 v16, v14, v12
	v_xor_b32_e32 v15, s39, v15
	s_add_i32 s30, s30, 1
	v_mul_lo_u32 v17, v16, s10
	v_add_u32_e32 v18, 1, v16
	v_sub_u32_e32 v14, v14, v17
	v_cmp_le_u32_e32 vcc, s10, v14
	v_subrev_u32_e32 v17, s10, v14
	v_cndmask_b32_e32 v16, v16, v18, vcc
	v_cndmask_b32_e32 v14, v14, v17, vcc
	v_add_u32_e32 v17, 1, v16
	v_cmp_le_u32_e32 vcc, s10, v14
	v_cndmask_b32_e32 v14, v16, v17, vcc
	v_xor_b32_e32 v14, v14, v15
	v_sub_u32_e32 v14, v14, v15
	v_cmp_ge_i32_e32 vcc, v14, v5
	s_or_b64 s[28:29], vcc, s[28:29]
	s_cmp_ge_i32 s30, s9
	s_cselect_b64 s[34:35], -1, 0
	s_or_b64 s[34:35], vcc, s[34:35]
	s_and_b64 s[34:35], exec, s[34:35]
	s_or_b64 s[26:27], s[34:35], s[26:27]
	s_andn2_b64 s[24:25], s[24:25], exec
	s_and_b64 s[34:35], s[28:29], exec
	v_cndmask_b32_e32 v6, v6, v14, vcc
	v_cndmask_b32_e32 v9, v9, v3, vcc
	s_or_b64 s[24:25], s[24:25], s[34:35]
	s_andn2_b64 exec, exec, s[26:27]
	s_cbranch_execnz .LBB14_13
; %bb.14:                               ;   in Loop: Header=BB14_11 Depth=2
	s_or_b64 exec, exec, s[26:27]
	s_branch .LBB14_10
.LBB14_15:                              ;   in Loop: Header=BB14_7 Depth=1
	s_or_b64 exec, exec, s[22:23]
.LBB14_16:                              ;   in Loop: Header=BB14_7 Depth=1
	s_or_b64 exec, exec, s[20:21]
	v_mov_b32_dpp v3, v6 row_shr:1 row_mask:0xf bank_mask:0xf
	v_min_i32_e32 v3, v3, v6
	s_nop 1
	v_mov_b32_dpp v4, v3 row_shr:2 row_mask:0xf bank_mask:0xf
	v_min_i32_e32 v3, v4, v3
	v_cmp_gt_i32_e32 vcc, s11, v3
	s_and_b64 s[22:23], s[0:1], vcc
	s_and_saveexec_b64 s[20:21], s[22:23]
	s_cbranch_execz .LBB14_18
; %bb.17:                               ;   in Loop: Header=BB14_7 Depth=1
	v_add_u32_e32 v4, v13, v7
	v_ashrrev_i32_e32 v5, 31, v4
	v_lshlrev_b64 v[4:5], 2, v[4:5]
	v_add_u32_e32 v6, 1, v13
	s_waitcnt lgkmcnt(0)
	v_mov_b32_e32 v13, s7
	v_add_co_u32_e32 v4, vcc, s6, v4
	v_addc_co_u32_e32 v5, vcc, v13, v5, vcc
	v_add_u32_e32 v13, s33, v3
	global_store_dword v[4:5], v13, off
	v_mov_b32_e32 v13, v6
.LBB14_18:                              ;   in Loop: Header=BB14_7 Depth=1
	s_or_b64 exec, exec, s[20:21]
	ds_bpermute_b32 v14, v11, v3
	ds_bpermute_b32 v13, v11, v13
	v_cmp_lt_i32_e32 vcc, v9, v8
	s_and_saveexec_b64 s[20:21], vcc
	s_cbranch_execz .LBB14_6
; %bb.19:                               ;   in Loop: Header=BB14_7 Depth=1
	v_mad_u64_u32 v[3:4], s[22:23], s9, v9, v[2:3]
	s_waitcnt lgkmcnt(0)
	v_add_u32_e32 v5, v10, v13
	v_mul_lo_u32 v15, v5, s13
	v_mul_lo_u32 v16, v14, s13
	v_mad_u64_u32 v[3:4], s[22:23], s8, v3, v[1:2]
	s_mov_b64 s[22:23], 0
	v_mov_b32_e32 v4, v9
	s_branch .LBB14_21
.LBB14_20:                              ;   in Loop: Header=BB14_21 Depth=2
	s_or_b64 exec, exec, s[28:29]
	s_and_b64 s[24:25], exec, s[24:25]
	s_or_b64 s[22:23], s[24:25], s[22:23]
	s_andn2_b64 exec, exec, s[22:23]
	s_cbranch_execz .LBB14_6
.LBB14_21:                              ;   Parent Loop BB14_7 Depth=1
                                        ; =>  This Loop Header: Depth=2
                                        ;       Child Loop BB14_24 Depth 3
	s_mov_b64 s[24:25], -1
	s_and_b64 vcc, exec, s[2:3]
	s_mov_b64 s[26:27], -1
	s_cbranch_vccnz .LBB14_29
; %bb.22:                               ;   in Loop: Header=BB14_21 Depth=2
	v_ashrrev_i32_e32 v5, 31, v4
	v_lshlrev_b64 v[5:6], 2, v[4:5]
	v_mov_b32_e32 v17, s19
	v_add_co_u32_e32 v5, vcc, s18, v5
	v_addc_co_u32_e32 v6, vcc, v17, v6, vcc
	global_load_dword v5, v[5:6], off
	s_mov_b64 s[28:29], 0
	s_mov_b32 s41, s9
                                        ; implicit-def: $sgpr26_sgpr27
	s_waitcnt vmcnt(0)
	v_subrev_u32_e32 v5, s38, v5
	v_mul_lo_u32 v17, v5, s9
	v_mov_b32_e32 v5, v3
	s_branch .LBB14_24
.LBB14_23:                              ;   in Loop: Header=BB14_24 Depth=3
	s_or_b64 exec, exec, s[36:37]
	s_xor_b64 s[34:35], s[34:35], -1
	s_and_b64 s[30:31], exec, s[30:31]
	s_or_b64 s[28:29], s[30:31], s[28:29]
	s_andn2_b64 s[26:27], s[26:27], exec
	s_and_b64 s[30:31], s[34:35], exec
	s_or_b64 s[26:27], s[26:27], s[30:31]
	s_andn2_b64 exec, exec, s[28:29]
	s_cbranch_execz .LBB14_28
.LBB14_24:                              ;   Parent Loop BB14_7 Depth=1
                                        ;     Parent Loop BB14_21 Depth=2
                                        ; =>    This Inner Loop Header: Depth=3
	v_sub_u32_e32 v6, 0, v17
	v_max_i32_e32 v6, v17, v6
	v_mul_hi_u32 v18, v6, v12
	v_ashrrev_i32_e32 v20, 31, v17
	v_xor_b32_e32 v20, s39, v20
	v_mul_lo_u32 v19, v18, s10
	v_add_u32_e32 v21, 1, v18
	v_sub_u32_e32 v6, v6, v19
	v_cmp_le_u32_e32 vcc, s10, v6
	v_subrev_u32_e32 v19, s10, v6
	v_cndmask_b32_e32 v18, v18, v21, vcc
	v_cndmask_b32_e32 v6, v6, v19, vcc
	v_add_u32_e32 v19, 1, v18
	v_cmp_le_u32_e32 vcc, s10, v6
	v_cndmask_b32_e32 v6, v18, v19, vcc
	v_xor_b32_e32 v6, v6, v20
	v_sub_u32_e32 v18, v6, v20
	v_cmp_eq_u32_e32 vcc, v18, v14
	s_and_saveexec_b64 s[30:31], vcc
	s_cbranch_execz .LBB14_26
; %bb.25:                               ;   in Loop: Header=BB14_24 Depth=3
	v_ashrrev_i32_e32 v6, 31, v5
	v_lshlrev_b64 v[19:20], 2, v[5:6]
	v_mov_b32_e32 v6, s17
	v_add_co_u32_e32 v19, vcc, s16, v19
	v_addc_co_u32_e32 v20, vcc, v6, v20, vcc
	global_load_dword v6, v[19:20], off
	v_sub_u32_e32 v19, v17, v16
	v_add_u32_e32 v19, v19, v15
	v_mad_u64_u32 v[19:20], s[34:35], v19, s12, v[0:1]
	v_mov_b32_e32 v21, s15
	v_ashrrev_i32_e32 v20, 31, v19
	v_lshlrev_b64 v[19:20], 2, v[19:20]
	v_add_co_u32_e32 v19, vcc, s14, v19
	v_addc_co_u32_e32 v20, vcc, v21, v20, vcc
	s_waitcnt vmcnt(0)
	global_store_dword v[19:20], v6, off
.LBB14_26:                              ;   in Loop: Header=BB14_24 Depth=3
	s_or_b64 exec, exec, s[30:31]
	v_cmp_le_i32_e32 vcc, v18, v14
	s_mov_b64 s[30:31], -1
	s_mov_b64 s[34:35], -1
	s_and_saveexec_b64 s[36:37], vcc
	s_cbranch_execz .LBB14_23
; %bb.27:                               ;   in Loop: Header=BB14_24 Depth=3
	s_add_i32 s41, s41, -1
	s_cmp_eq_u32 s41, 0
	s_cselect_b64 s[30:31], -1, 0
	v_add_u32_e32 v17, 1, v17
	v_add_u32_e32 v5, s8, v5
	s_xor_b64 s[34:35], exec, -1
	s_orn2_b64 s[30:31], s[30:31], exec
	s_branch .LBB14_23
.LBB14_28:                              ;   in Loop: Header=BB14_21 Depth=2
	s_or_b64 exec, exec, s[28:29]
.LBB14_29:                              ;   in Loop: Header=BB14_21 Depth=2
	s_and_saveexec_b64 s[28:29], s[26:27]
	s_cbranch_execz .LBB14_20
; %bb.30:                               ;   in Loop: Header=BB14_21 Depth=2
	v_add_u32_e32 v4, 1, v4
	v_cmp_ge_i32_e32 vcc, v4, v8
	v_add_u32_e32 v3, s40, v3
	s_orn2_b64 s[24:25], vcc, exec
	s_branch .LBB14_20
.LBB14_31:
	s_endpgm
	.section	.rodata,"a",@progbits
	.p2align	6, 0x0
	.amdhsa_kernel _ZN9rocsparseL23gebsr2gebsr_fast_kernelIL20rocsparse_direction_1ELi16ELi4EfEEvii21rocsparse_index_base_PKT2_PKiS7_iiiiS2_PS3_PiS9_ii
		.amdhsa_group_segment_fixed_size 0
		.amdhsa_private_segment_fixed_size 0
		.amdhsa_kernarg_size 96
		.amdhsa_user_sgpr_count 6
		.amdhsa_user_sgpr_private_segment_buffer 1
		.amdhsa_user_sgpr_dispatch_ptr 0
		.amdhsa_user_sgpr_queue_ptr 0
		.amdhsa_user_sgpr_kernarg_segment_ptr 1
		.amdhsa_user_sgpr_dispatch_id 0
		.amdhsa_user_sgpr_flat_scratch_init 0
		.amdhsa_user_sgpr_private_segment_size 0
		.amdhsa_uses_dynamic_stack 0
		.amdhsa_system_sgpr_private_segment_wavefront_offset 0
		.amdhsa_system_sgpr_workgroup_id_x 1
		.amdhsa_system_sgpr_workgroup_id_y 0
		.amdhsa_system_sgpr_workgroup_id_z 0
		.amdhsa_system_sgpr_workgroup_info 0
		.amdhsa_system_vgpr_workitem_id 0
		.amdhsa_next_free_vgpr 22
		.amdhsa_next_free_sgpr 42
		.amdhsa_reserve_vcc 1
		.amdhsa_reserve_flat_scratch 0
		.amdhsa_float_round_mode_32 0
		.amdhsa_float_round_mode_16_64 0
		.amdhsa_float_denorm_mode_32 3
		.amdhsa_float_denorm_mode_16_64 3
		.amdhsa_dx10_clamp 1
		.amdhsa_ieee_mode 1
		.amdhsa_fp16_overflow 0
		.amdhsa_exception_fp_ieee_invalid_op 0
		.amdhsa_exception_fp_denorm_src 0
		.amdhsa_exception_fp_ieee_div_zero 0
		.amdhsa_exception_fp_ieee_overflow 0
		.amdhsa_exception_fp_ieee_underflow 0
		.amdhsa_exception_fp_ieee_inexact 0
		.amdhsa_exception_int_div_zero 0
	.end_amdhsa_kernel
	.section	.text._ZN9rocsparseL23gebsr2gebsr_fast_kernelIL20rocsparse_direction_1ELi16ELi4EfEEvii21rocsparse_index_base_PKT2_PKiS7_iiiiS2_PS3_PiS9_ii,"axG",@progbits,_ZN9rocsparseL23gebsr2gebsr_fast_kernelIL20rocsparse_direction_1ELi16ELi4EfEEvii21rocsparse_index_base_PKT2_PKiS7_iiiiS2_PS3_PiS9_ii,comdat
.Lfunc_end14:
	.size	_ZN9rocsparseL23gebsr2gebsr_fast_kernelIL20rocsparse_direction_1ELi16ELi4EfEEvii21rocsparse_index_base_PKT2_PKiS7_iiiiS2_PS3_PiS9_ii, .Lfunc_end14-_ZN9rocsparseL23gebsr2gebsr_fast_kernelIL20rocsparse_direction_1ELi16ELi4EfEEvii21rocsparse_index_base_PKT2_PKiS7_iiiiS2_PS3_PiS9_ii
                                        ; -- End function
	.set _ZN9rocsparseL23gebsr2gebsr_fast_kernelIL20rocsparse_direction_1ELi16ELi4EfEEvii21rocsparse_index_base_PKT2_PKiS7_iiiiS2_PS3_PiS9_ii.num_vgpr, 22
	.set _ZN9rocsparseL23gebsr2gebsr_fast_kernelIL20rocsparse_direction_1ELi16ELi4EfEEvii21rocsparse_index_base_PKT2_PKiS7_iiiiS2_PS3_PiS9_ii.num_agpr, 0
	.set _ZN9rocsparseL23gebsr2gebsr_fast_kernelIL20rocsparse_direction_1ELi16ELi4EfEEvii21rocsparse_index_base_PKT2_PKiS7_iiiiS2_PS3_PiS9_ii.numbered_sgpr, 42
	.set _ZN9rocsparseL23gebsr2gebsr_fast_kernelIL20rocsparse_direction_1ELi16ELi4EfEEvii21rocsparse_index_base_PKT2_PKiS7_iiiiS2_PS3_PiS9_ii.num_named_barrier, 0
	.set _ZN9rocsparseL23gebsr2gebsr_fast_kernelIL20rocsparse_direction_1ELi16ELi4EfEEvii21rocsparse_index_base_PKT2_PKiS7_iiiiS2_PS3_PiS9_ii.private_seg_size, 0
	.set _ZN9rocsparseL23gebsr2gebsr_fast_kernelIL20rocsparse_direction_1ELi16ELi4EfEEvii21rocsparse_index_base_PKT2_PKiS7_iiiiS2_PS3_PiS9_ii.uses_vcc, 1
	.set _ZN9rocsparseL23gebsr2gebsr_fast_kernelIL20rocsparse_direction_1ELi16ELi4EfEEvii21rocsparse_index_base_PKT2_PKiS7_iiiiS2_PS3_PiS9_ii.uses_flat_scratch, 0
	.set _ZN9rocsparseL23gebsr2gebsr_fast_kernelIL20rocsparse_direction_1ELi16ELi4EfEEvii21rocsparse_index_base_PKT2_PKiS7_iiiiS2_PS3_PiS9_ii.has_dyn_sized_stack, 0
	.set _ZN9rocsparseL23gebsr2gebsr_fast_kernelIL20rocsparse_direction_1ELi16ELi4EfEEvii21rocsparse_index_base_PKT2_PKiS7_iiiiS2_PS3_PiS9_ii.has_recursion, 0
	.set _ZN9rocsparseL23gebsr2gebsr_fast_kernelIL20rocsparse_direction_1ELi16ELi4EfEEvii21rocsparse_index_base_PKT2_PKiS7_iiiiS2_PS3_PiS9_ii.has_indirect_call, 0
	.section	.AMDGPU.csdata,"",@progbits
; Kernel info:
; codeLenInByte = 1500
; TotalNumSgprs: 46
; NumVgprs: 22
; ScratchSize: 0
; MemoryBound: 0
; FloatMode: 240
; IeeeMode: 1
; LDSByteSize: 0 bytes/workgroup (compile time only)
; SGPRBlocks: 5
; VGPRBlocks: 5
; NumSGPRsForWavesPerEU: 46
; NumVGPRsForWavesPerEU: 22
; Occupancy: 10
; WaveLimiterHint : 0
; COMPUTE_PGM_RSRC2:SCRATCH_EN: 0
; COMPUTE_PGM_RSRC2:USER_SGPR: 6
; COMPUTE_PGM_RSRC2:TRAP_HANDLER: 0
; COMPUTE_PGM_RSRC2:TGID_X_EN: 1
; COMPUTE_PGM_RSRC2:TGID_Y_EN: 0
; COMPUTE_PGM_RSRC2:TGID_Z_EN: 0
; COMPUTE_PGM_RSRC2:TIDIG_COMP_CNT: 0
	.section	.text._ZN9rocsparseL23gebsr2gebsr_fast_kernelIL20rocsparse_direction_1ELi16ELi8EfEEvii21rocsparse_index_base_PKT2_PKiS7_iiiiS2_PS3_PiS9_ii,"axG",@progbits,_ZN9rocsparseL23gebsr2gebsr_fast_kernelIL20rocsparse_direction_1ELi16ELi8EfEEvii21rocsparse_index_base_PKT2_PKiS7_iiiiS2_PS3_PiS9_ii,comdat
	.globl	_ZN9rocsparseL23gebsr2gebsr_fast_kernelIL20rocsparse_direction_1ELi16ELi8EfEEvii21rocsparse_index_base_PKT2_PKiS7_iiiiS2_PS3_PiS9_ii ; -- Begin function _ZN9rocsparseL23gebsr2gebsr_fast_kernelIL20rocsparse_direction_1ELi16ELi8EfEEvii21rocsparse_index_base_PKT2_PKiS7_iiiiS2_PS3_PiS9_ii
	.p2align	8
	.type	_ZN9rocsparseL23gebsr2gebsr_fast_kernelIL20rocsparse_direction_1ELi16ELi8EfEEvii21rocsparse_index_base_PKT2_PKiS7_iiiiS2_PS3_PiS9_ii,@function
_ZN9rocsparseL23gebsr2gebsr_fast_kernelIL20rocsparse_direction_1ELi16ELi8EfEEvii21rocsparse_index_base_PKT2_PKiS7_iiiiS2_PS3_PiS9_ii: ; @_ZN9rocsparseL23gebsr2gebsr_fast_kernelIL20rocsparse_direction_1ELi16ELi8EfEEvii21rocsparse_index_base_PKT2_PKiS7_iiiiS2_PS3_PiS9_ii
; %bb.0:
	s_load_dwordx4 s[8:11], s[4:5], 0x28
	s_load_dword s33, s[4:5], 0x38
	s_load_dwordx2 s[12:13], s[4:5], 0x58
	v_lshrrev_b32_e32 v4, 3, v0
	s_lshl_b32 s2, s6, 1
	s_waitcnt lgkmcnt(0)
	s_abs_i32 s3, s8
	v_cvt_f32_u32_e32 v1, s3
	s_sub_i32 s0, 0, s3
	v_and_b32_e32 v0, 7, v0
	s_load_dword s6, s[4:5], 0x0
	s_load_dword s38, s[4:5], 0x8
	v_rcp_iflag_f32_e32 v1, v1
	v_cmp_gt_i32_e32 vcc, s12, v0
	v_mov_b32_e32 v7, 0
	v_mov_b32_e32 v8, 0
	v_mul_f32_e32 v1, 0x4f7ffffe, v1
	v_cvt_u32_f32_e32 v5, v1
	v_or_b32_e32 v1, s2, v4
	v_mul_lo_u32 v6, s0, v5
	v_mad_u64_u32 v[2:3], s[0:1], v1, s12, v[0:1]
	v_mul_hi_u32 v3, v5, v6
	v_sub_u32_e32 v6, 0, v2
	v_max_i32_e32 v6, v2, v6
	v_xor_b32_e32 v2, s8, v2
	v_add_u32_e32 v3, v5, v3
	v_mul_hi_u32 v3, v6, v3
	v_ashrrev_i32_e32 v5, 31, v2
	v_mul_lo_u32 v9, v3, s3
	v_add_u32_e32 v2, 1, v3
	v_sub_u32_e32 v6, v6, v9
	v_cmp_le_u32_e64 s[0:1], s3, v6
	v_cndmask_b32_e64 v2, v3, v2, s[0:1]
	v_subrev_u32_e32 v3, s3, v6
	v_cndmask_b32_e64 v3, v6, v3, s[0:1]
	v_add_u32_e32 v6, 1, v2
	v_cmp_le_u32_e64 s[0:1], s3, v3
	v_cndmask_b32_e64 v2, v2, v6, s[0:1]
	v_xor_b32_e32 v6, v2, v5
	v_sub_u32_e32 v2, v6, v5
	s_waitcnt lgkmcnt(0)
	v_cmp_gt_i32_e64 s[0:1], s6, v2
	s_and_b64 s[6:7], vcc, s[0:1]
	v_mov_b32_e32 v9, 0
	s_and_saveexec_b64 s[0:1], s[6:7]
	s_cbranch_execnz .LBB15_3
; %bb.1:
	s_or_b64 exec, exec, s[0:1]
	v_cmp_gt_i32_e32 vcc, s10, v1
	s_and_saveexec_b64 s[0:1], vcc
	s_cbranch_execnz .LBB15_4
.LBB15_2:
	s_or_b64 exec, exec, s[0:1]
	s_cmp_lt_i32 s11, 1
	s_cbranch_scc0 .LBB15_5
	s_branch .LBB15_31
.LBB15_3:
	s_load_dwordx2 s[6:7], s[4:5], 0x18
	v_ashrrev_i32_e32 v3, 31, v2
	v_lshlrev_b64 v[2:3], 2, v[2:3]
	s_waitcnt lgkmcnt(0)
	v_mov_b32_e32 v8, s7
	v_add_co_u32_e32 v2, vcc, s6, v2
	v_addc_co_u32_e32 v3, vcc, v8, v3, vcc
	global_load_dwordx2 v[2:3], v[2:3], off
	s_waitcnt vmcnt(0)
	v_subrev_u32_e32 v9, s38, v2
	v_subrev_u32_e32 v8, s38, v3
	s_or_b64 exec, exec, s[0:1]
	v_cmp_gt_i32_e32 vcc, s10, v1
	s_and_saveexec_b64 s[0:1], vcc
	s_cbranch_execz .LBB15_2
.LBB15_4:
	s_load_dwordx2 s[6:7], s[4:5], 0x48
	v_ashrrev_i32_e32 v2, 31, v1
	v_lshlrev_b64 v[1:2], 2, v[1:2]
	s_waitcnt lgkmcnt(0)
	v_mov_b32_e32 v3, s7
	v_add_co_u32_e32 v1, vcc, s6, v1
	v_addc_co_u32_e32 v2, vcc, v3, v2, vcc
	global_load_dword v1, v[1:2], off
	s_waitcnt vmcnt(0)
	v_subrev_u32_e32 v7, s33, v1
	s_or_b64 exec, exec, s[0:1]
	s_cmp_lt_i32 s11, 1
	s_cbranch_scc1 .LBB15_31
.LBB15_5:
	s_cmp_gt_i32 s9, 0
	s_cselect_b64 s[20:21], -1, 0
	s_abs_i32 s10, s13
	v_cvt_f32_u32_e32 v1, s10
	s_sub_i32 s3, 0, s10
	s_load_dwordx2 s[6:7], s[4:5], 0x50
	s_load_dwordx2 s[14:15], s[4:5], 0x40
	;; [unrolled: 1-line block ×4, first 2 shown]
	v_add_u32_e32 v4, s2, v4
	v_rcp_iflag_f32_e32 v1, v1
	v_cmp_eq_u32_e64 s[0:1], 7, v0
	v_add_u32_e32 v10, -1, v7
	s_ashr_i32 s39, s13, 31
	v_mul_f32_e32 v1, 0x4f7ffffe, v1
	v_cvt_u32_f32_e32 v3, v1
	v_mbcnt_lo_u32_b32 v1, -1, 0
	v_mbcnt_hi_u32_b32 v11, -1, v1
	v_lshl_or_b32 v11, v11, 2, 28
	v_mul_lo_u32 v2, s3, v3
	s_mul_i32 s40, s9, s8
	s_mov_b64 s[4:5], 0
	v_mov_b32_e32 v13, 0
	v_mul_hi_u32 v12, v3, v2
	v_mad_u64_u32 v[1:2], s[2:3], s12, v4, v[0:1]
	v_sub_u32_e32 v2, v5, v6
	v_add_u32_e32 v12, v3, v12
	v_cndmask_b32_e64 v3, 0, 1, s[20:21]
	v_mov_b32_e32 v5, 0
	v_cmp_ne_u32_e64 s[2:3], 1, v3
	s_branch .LBB15_7
.LBB15_6:                               ;   in Loop: Header=BB15_7 Depth=1
	s_or_b64 exec, exec, s[20:21]
	s_waitcnt lgkmcnt(0)
	v_add_u32_e32 v5, 1, v14
	v_cmp_le_i32_e32 vcc, s11, v5
	s_or_b64 s[4:5], vcc, s[4:5]
	s_andn2_b64 exec, exec, s[4:5]
	s_cbranch_execz .LBB15_31
.LBB15_7:                               ; =>This Loop Header: Depth=1
                                        ;     Child Loop BB15_11 Depth 2
                                        ;       Child Loop BB15_13 Depth 3
                                        ;     Child Loop BB15_21 Depth 2
                                        ;       Child Loop BB15_24 Depth 3
	v_cmp_lt_i32_e32 vcc, v9, v8
	v_mov_b32_e32 v6, s11
	s_and_saveexec_b64 s[20:21], vcc
	s_cbranch_execz .LBB15_16
; %bb.8:                                ;   in Loop: Header=BB15_7 Depth=1
	s_mov_b64 s[22:23], 0
	v_mov_b32_e32 v6, s11
	v_mov_b32_e32 v3, v9
	s_branch .LBB15_11
.LBB15_9:                               ;   in Loop: Header=BB15_11 Depth=2
	s_mov_b64 s[24:25], 0
.LBB15_10:                              ;   in Loop: Header=BB15_11 Depth=2
	v_add_u32_e32 v3, 1, v3
	v_cmp_ge_i32_e32 vcc, v3, v8
	s_or_b64 s[24:25], s[24:25], vcc
	s_and_b64 s[24:25], exec, s[24:25]
	s_or_b64 s[22:23], s[24:25], s[22:23]
	s_andn2_b64 exec, exec, s[22:23]
	s_cbranch_execz .LBB15_15
.LBB15_11:                              ;   Parent Loop BB15_7 Depth=1
                                        ; =>  This Loop Header: Depth=2
                                        ;       Child Loop BB15_13 Depth 3
	s_and_b64 vcc, exec, s[2:3]
	s_cbranch_vccnz .LBB15_9
; %bb.12:                               ;   in Loop: Header=BB15_11 Depth=2
	v_ashrrev_i32_e32 v4, 31, v3
	v_lshlrev_b64 v[14:15], 2, v[3:4]
	s_waitcnt lgkmcnt(0)
	v_mov_b32_e32 v4, s19
	v_add_co_u32_e32 v14, vcc, s18, v14
	v_addc_co_u32_e32 v15, vcc, v4, v15, vcc
	global_load_dword v4, v[14:15], off
	s_mov_b32 s30, 0
	s_mov_b64 s[28:29], 0
	s_mov_b64 s[26:27], 0
                                        ; implicit-def: $sgpr24_sgpr25
	s_waitcnt vmcnt(0)
	v_subrev_u32_e32 v4, s38, v4
	v_mul_lo_u32 v4, v4, s9
.LBB15_13:                              ;   Parent Loop BB15_7 Depth=1
                                        ;     Parent Loop BB15_11 Depth=2
                                        ; =>    This Inner Loop Header: Depth=3
	v_add_u32_e32 v14, s30, v4
	v_sub_u32_e32 v16, 0, v14
	v_ashrrev_i32_e32 v15, 31, v14
	v_max_i32_e32 v14, v14, v16
	v_mul_hi_u32 v16, v14, v12
	v_xor_b32_e32 v15, s39, v15
	s_add_i32 s30, s30, 1
	v_mul_lo_u32 v17, v16, s10
	v_add_u32_e32 v18, 1, v16
	v_sub_u32_e32 v14, v14, v17
	v_cmp_le_u32_e32 vcc, s10, v14
	v_subrev_u32_e32 v17, s10, v14
	v_cndmask_b32_e32 v16, v16, v18, vcc
	v_cndmask_b32_e32 v14, v14, v17, vcc
	v_add_u32_e32 v17, 1, v16
	v_cmp_le_u32_e32 vcc, s10, v14
	v_cndmask_b32_e32 v14, v16, v17, vcc
	v_xor_b32_e32 v14, v14, v15
	v_sub_u32_e32 v14, v14, v15
	v_cmp_ge_i32_e32 vcc, v14, v5
	s_or_b64 s[28:29], vcc, s[28:29]
	s_cmp_ge_i32 s30, s9
	s_cselect_b64 s[34:35], -1, 0
	s_or_b64 s[34:35], vcc, s[34:35]
	s_and_b64 s[34:35], exec, s[34:35]
	s_or_b64 s[26:27], s[34:35], s[26:27]
	s_andn2_b64 s[24:25], s[24:25], exec
	s_and_b64 s[34:35], s[28:29], exec
	v_cndmask_b32_e32 v6, v6, v14, vcc
	v_cndmask_b32_e32 v9, v9, v3, vcc
	s_or_b64 s[24:25], s[24:25], s[34:35]
	s_andn2_b64 exec, exec, s[26:27]
	s_cbranch_execnz .LBB15_13
; %bb.14:                               ;   in Loop: Header=BB15_11 Depth=2
	s_or_b64 exec, exec, s[26:27]
	s_branch .LBB15_10
.LBB15_15:                              ;   in Loop: Header=BB15_7 Depth=1
	s_or_b64 exec, exec, s[22:23]
.LBB15_16:                              ;   in Loop: Header=BB15_7 Depth=1
	s_or_b64 exec, exec, s[20:21]
	v_mov_b32_dpp v3, v6 row_shr:1 row_mask:0xf bank_mask:0xf
	v_min_i32_e32 v3, v3, v6
	s_nop 1
	v_mov_b32_dpp v4, v3 row_shr:2 row_mask:0xf bank_mask:0xf
	v_min_i32_e32 v3, v4, v3
	s_nop 1
	v_mov_b32_dpp v4, v3 row_shr:4 row_mask:0xf bank_mask:0xe
	v_min_i32_e32 v3, v4, v3
	v_cmp_gt_i32_e32 vcc, s11, v3
	s_and_b64 s[22:23], s[0:1], vcc
	s_and_saveexec_b64 s[20:21], s[22:23]
	s_cbranch_execz .LBB15_18
; %bb.17:                               ;   in Loop: Header=BB15_7 Depth=1
	v_add_u32_e32 v4, v13, v7
	v_ashrrev_i32_e32 v5, 31, v4
	v_lshlrev_b64 v[4:5], 2, v[4:5]
	v_add_u32_e32 v6, 1, v13
	s_waitcnt lgkmcnt(0)
	v_mov_b32_e32 v13, s7
	v_add_co_u32_e32 v4, vcc, s6, v4
	v_addc_co_u32_e32 v5, vcc, v13, v5, vcc
	v_add_u32_e32 v13, s33, v3
	global_store_dword v[4:5], v13, off
	v_mov_b32_e32 v13, v6
.LBB15_18:                              ;   in Loop: Header=BB15_7 Depth=1
	s_or_b64 exec, exec, s[20:21]
	ds_bpermute_b32 v14, v11, v3
	ds_bpermute_b32 v13, v11, v13
	v_cmp_lt_i32_e32 vcc, v9, v8
	s_and_saveexec_b64 s[20:21], vcc
	s_cbranch_execz .LBB15_6
; %bb.19:                               ;   in Loop: Header=BB15_7 Depth=1
	v_mad_u64_u32 v[3:4], s[22:23], s9, v9, v[2:3]
	s_waitcnt lgkmcnt(0)
	v_add_u32_e32 v5, v10, v13
	v_mul_lo_u32 v15, v5, s13
	v_mul_lo_u32 v16, v14, s13
	v_mad_u64_u32 v[3:4], s[22:23], s8, v3, v[1:2]
	s_mov_b64 s[22:23], 0
	v_mov_b32_e32 v4, v9
	s_branch .LBB15_21
.LBB15_20:                              ;   in Loop: Header=BB15_21 Depth=2
	s_or_b64 exec, exec, s[28:29]
	s_and_b64 s[24:25], exec, s[24:25]
	s_or_b64 s[22:23], s[24:25], s[22:23]
	s_andn2_b64 exec, exec, s[22:23]
	s_cbranch_execz .LBB15_6
.LBB15_21:                              ;   Parent Loop BB15_7 Depth=1
                                        ; =>  This Loop Header: Depth=2
                                        ;       Child Loop BB15_24 Depth 3
	s_mov_b64 s[24:25], -1
	s_and_b64 vcc, exec, s[2:3]
	s_mov_b64 s[26:27], -1
	s_cbranch_vccnz .LBB15_29
; %bb.22:                               ;   in Loop: Header=BB15_21 Depth=2
	v_ashrrev_i32_e32 v5, 31, v4
	v_lshlrev_b64 v[5:6], 2, v[4:5]
	v_mov_b32_e32 v17, s19
	v_add_co_u32_e32 v5, vcc, s18, v5
	v_addc_co_u32_e32 v6, vcc, v17, v6, vcc
	global_load_dword v5, v[5:6], off
	s_mov_b64 s[28:29], 0
	s_mov_b32 s41, s9
                                        ; implicit-def: $sgpr26_sgpr27
	s_waitcnt vmcnt(0)
	v_subrev_u32_e32 v5, s38, v5
	v_mul_lo_u32 v17, v5, s9
	v_mov_b32_e32 v5, v3
	s_branch .LBB15_24
.LBB15_23:                              ;   in Loop: Header=BB15_24 Depth=3
	s_or_b64 exec, exec, s[36:37]
	s_xor_b64 s[34:35], s[34:35], -1
	s_and_b64 s[30:31], exec, s[30:31]
	s_or_b64 s[28:29], s[30:31], s[28:29]
	s_andn2_b64 s[26:27], s[26:27], exec
	s_and_b64 s[30:31], s[34:35], exec
	s_or_b64 s[26:27], s[26:27], s[30:31]
	s_andn2_b64 exec, exec, s[28:29]
	s_cbranch_execz .LBB15_28
.LBB15_24:                              ;   Parent Loop BB15_7 Depth=1
                                        ;     Parent Loop BB15_21 Depth=2
                                        ; =>    This Inner Loop Header: Depth=3
	v_sub_u32_e32 v6, 0, v17
	v_max_i32_e32 v6, v17, v6
	v_mul_hi_u32 v18, v6, v12
	v_ashrrev_i32_e32 v20, 31, v17
	v_xor_b32_e32 v20, s39, v20
	v_mul_lo_u32 v19, v18, s10
	v_add_u32_e32 v21, 1, v18
	v_sub_u32_e32 v6, v6, v19
	v_cmp_le_u32_e32 vcc, s10, v6
	v_subrev_u32_e32 v19, s10, v6
	v_cndmask_b32_e32 v18, v18, v21, vcc
	v_cndmask_b32_e32 v6, v6, v19, vcc
	v_add_u32_e32 v19, 1, v18
	v_cmp_le_u32_e32 vcc, s10, v6
	v_cndmask_b32_e32 v6, v18, v19, vcc
	v_xor_b32_e32 v6, v6, v20
	v_sub_u32_e32 v18, v6, v20
	v_cmp_eq_u32_e32 vcc, v18, v14
	s_and_saveexec_b64 s[30:31], vcc
	s_cbranch_execz .LBB15_26
; %bb.25:                               ;   in Loop: Header=BB15_24 Depth=3
	v_ashrrev_i32_e32 v6, 31, v5
	v_lshlrev_b64 v[19:20], 2, v[5:6]
	v_mov_b32_e32 v6, s17
	v_add_co_u32_e32 v19, vcc, s16, v19
	v_addc_co_u32_e32 v20, vcc, v6, v20, vcc
	global_load_dword v6, v[19:20], off
	v_sub_u32_e32 v19, v17, v16
	v_add_u32_e32 v19, v19, v15
	v_mad_u64_u32 v[19:20], s[34:35], v19, s12, v[0:1]
	v_mov_b32_e32 v21, s15
	v_ashrrev_i32_e32 v20, 31, v19
	v_lshlrev_b64 v[19:20], 2, v[19:20]
	v_add_co_u32_e32 v19, vcc, s14, v19
	v_addc_co_u32_e32 v20, vcc, v21, v20, vcc
	s_waitcnt vmcnt(0)
	global_store_dword v[19:20], v6, off
.LBB15_26:                              ;   in Loop: Header=BB15_24 Depth=3
	s_or_b64 exec, exec, s[30:31]
	v_cmp_le_i32_e32 vcc, v18, v14
	s_mov_b64 s[30:31], -1
	s_mov_b64 s[34:35], -1
	s_and_saveexec_b64 s[36:37], vcc
	s_cbranch_execz .LBB15_23
; %bb.27:                               ;   in Loop: Header=BB15_24 Depth=3
	s_add_i32 s41, s41, -1
	s_cmp_eq_u32 s41, 0
	s_cselect_b64 s[30:31], -1, 0
	v_add_u32_e32 v17, 1, v17
	v_add_u32_e32 v5, s8, v5
	s_xor_b64 s[34:35], exec, -1
	s_orn2_b64 s[30:31], s[30:31], exec
	s_branch .LBB15_23
.LBB15_28:                              ;   in Loop: Header=BB15_21 Depth=2
	s_or_b64 exec, exec, s[28:29]
.LBB15_29:                              ;   in Loop: Header=BB15_21 Depth=2
	s_and_saveexec_b64 s[28:29], s[26:27]
	s_cbranch_execz .LBB15_20
; %bb.30:                               ;   in Loop: Header=BB15_21 Depth=2
	v_add_u32_e32 v4, 1, v4
	v_cmp_ge_i32_e32 vcc, v4, v8
	v_add_u32_e32 v3, s40, v3
	s_orn2_b64 s[24:25], vcc, exec
	s_branch .LBB15_20
.LBB15_31:
	s_endpgm
	.section	.rodata,"a",@progbits
	.p2align	6, 0x0
	.amdhsa_kernel _ZN9rocsparseL23gebsr2gebsr_fast_kernelIL20rocsparse_direction_1ELi16ELi8EfEEvii21rocsparse_index_base_PKT2_PKiS7_iiiiS2_PS3_PiS9_ii
		.amdhsa_group_segment_fixed_size 0
		.amdhsa_private_segment_fixed_size 0
		.amdhsa_kernarg_size 96
		.amdhsa_user_sgpr_count 6
		.amdhsa_user_sgpr_private_segment_buffer 1
		.amdhsa_user_sgpr_dispatch_ptr 0
		.amdhsa_user_sgpr_queue_ptr 0
		.amdhsa_user_sgpr_kernarg_segment_ptr 1
		.amdhsa_user_sgpr_dispatch_id 0
		.amdhsa_user_sgpr_flat_scratch_init 0
		.amdhsa_user_sgpr_private_segment_size 0
		.amdhsa_uses_dynamic_stack 0
		.amdhsa_system_sgpr_private_segment_wavefront_offset 0
		.amdhsa_system_sgpr_workgroup_id_x 1
		.amdhsa_system_sgpr_workgroup_id_y 0
		.amdhsa_system_sgpr_workgroup_id_z 0
		.amdhsa_system_sgpr_workgroup_info 0
		.amdhsa_system_vgpr_workitem_id 0
		.amdhsa_next_free_vgpr 22
		.amdhsa_next_free_sgpr 42
		.amdhsa_reserve_vcc 1
		.amdhsa_reserve_flat_scratch 0
		.amdhsa_float_round_mode_32 0
		.amdhsa_float_round_mode_16_64 0
		.amdhsa_float_denorm_mode_32 3
		.amdhsa_float_denorm_mode_16_64 3
		.amdhsa_dx10_clamp 1
		.amdhsa_ieee_mode 1
		.amdhsa_fp16_overflow 0
		.amdhsa_exception_fp_ieee_invalid_op 0
		.amdhsa_exception_fp_denorm_src 0
		.amdhsa_exception_fp_ieee_div_zero 0
		.amdhsa_exception_fp_ieee_overflow 0
		.amdhsa_exception_fp_ieee_underflow 0
		.amdhsa_exception_fp_ieee_inexact 0
		.amdhsa_exception_int_div_zero 0
	.end_amdhsa_kernel
	.section	.text._ZN9rocsparseL23gebsr2gebsr_fast_kernelIL20rocsparse_direction_1ELi16ELi8EfEEvii21rocsparse_index_base_PKT2_PKiS7_iiiiS2_PS3_PiS9_ii,"axG",@progbits,_ZN9rocsparseL23gebsr2gebsr_fast_kernelIL20rocsparse_direction_1ELi16ELi8EfEEvii21rocsparse_index_base_PKT2_PKiS7_iiiiS2_PS3_PiS9_ii,comdat
.Lfunc_end15:
	.size	_ZN9rocsparseL23gebsr2gebsr_fast_kernelIL20rocsparse_direction_1ELi16ELi8EfEEvii21rocsparse_index_base_PKT2_PKiS7_iiiiS2_PS3_PiS9_ii, .Lfunc_end15-_ZN9rocsparseL23gebsr2gebsr_fast_kernelIL20rocsparse_direction_1ELi16ELi8EfEEvii21rocsparse_index_base_PKT2_PKiS7_iiiiS2_PS3_PiS9_ii
                                        ; -- End function
	.set _ZN9rocsparseL23gebsr2gebsr_fast_kernelIL20rocsparse_direction_1ELi16ELi8EfEEvii21rocsparse_index_base_PKT2_PKiS7_iiiiS2_PS3_PiS9_ii.num_vgpr, 22
	.set _ZN9rocsparseL23gebsr2gebsr_fast_kernelIL20rocsparse_direction_1ELi16ELi8EfEEvii21rocsparse_index_base_PKT2_PKiS7_iiiiS2_PS3_PiS9_ii.num_agpr, 0
	.set _ZN9rocsparseL23gebsr2gebsr_fast_kernelIL20rocsparse_direction_1ELi16ELi8EfEEvii21rocsparse_index_base_PKT2_PKiS7_iiiiS2_PS3_PiS9_ii.numbered_sgpr, 42
	.set _ZN9rocsparseL23gebsr2gebsr_fast_kernelIL20rocsparse_direction_1ELi16ELi8EfEEvii21rocsparse_index_base_PKT2_PKiS7_iiiiS2_PS3_PiS9_ii.num_named_barrier, 0
	.set _ZN9rocsparseL23gebsr2gebsr_fast_kernelIL20rocsparse_direction_1ELi16ELi8EfEEvii21rocsparse_index_base_PKT2_PKiS7_iiiiS2_PS3_PiS9_ii.private_seg_size, 0
	.set _ZN9rocsparseL23gebsr2gebsr_fast_kernelIL20rocsparse_direction_1ELi16ELi8EfEEvii21rocsparse_index_base_PKT2_PKiS7_iiiiS2_PS3_PiS9_ii.uses_vcc, 1
	.set _ZN9rocsparseL23gebsr2gebsr_fast_kernelIL20rocsparse_direction_1ELi16ELi8EfEEvii21rocsparse_index_base_PKT2_PKiS7_iiiiS2_PS3_PiS9_ii.uses_flat_scratch, 0
	.set _ZN9rocsparseL23gebsr2gebsr_fast_kernelIL20rocsparse_direction_1ELi16ELi8EfEEvii21rocsparse_index_base_PKT2_PKiS7_iiiiS2_PS3_PiS9_ii.has_dyn_sized_stack, 0
	.set _ZN9rocsparseL23gebsr2gebsr_fast_kernelIL20rocsparse_direction_1ELi16ELi8EfEEvii21rocsparse_index_base_PKT2_PKiS7_iiiiS2_PS3_PiS9_ii.has_recursion, 0
	.set _ZN9rocsparseL23gebsr2gebsr_fast_kernelIL20rocsparse_direction_1ELi16ELi8EfEEvii21rocsparse_index_base_PKT2_PKiS7_iiiiS2_PS3_PiS9_ii.has_indirect_call, 0
	.section	.AMDGPU.csdata,"",@progbits
; Kernel info:
; codeLenInByte = 1516
; TotalNumSgprs: 46
; NumVgprs: 22
; ScratchSize: 0
; MemoryBound: 0
; FloatMode: 240
; IeeeMode: 1
; LDSByteSize: 0 bytes/workgroup (compile time only)
; SGPRBlocks: 5
; VGPRBlocks: 5
; NumSGPRsForWavesPerEU: 46
; NumVGPRsForWavesPerEU: 22
; Occupancy: 10
; WaveLimiterHint : 0
; COMPUTE_PGM_RSRC2:SCRATCH_EN: 0
; COMPUTE_PGM_RSRC2:USER_SGPR: 6
; COMPUTE_PGM_RSRC2:TRAP_HANDLER: 0
; COMPUTE_PGM_RSRC2:TGID_X_EN: 1
; COMPUTE_PGM_RSRC2:TGID_Y_EN: 0
; COMPUTE_PGM_RSRC2:TGID_Z_EN: 0
; COMPUTE_PGM_RSRC2:TIDIG_COMP_CNT: 0
	.section	.text._ZN9rocsparseL23gebsr2gebsr_fast_kernelIL20rocsparse_direction_1ELi16ELi16EfEEvii21rocsparse_index_base_PKT2_PKiS7_iiiiS2_PS3_PiS9_ii,"axG",@progbits,_ZN9rocsparseL23gebsr2gebsr_fast_kernelIL20rocsparse_direction_1ELi16ELi16EfEEvii21rocsparse_index_base_PKT2_PKiS7_iiiiS2_PS3_PiS9_ii,comdat
	.globl	_ZN9rocsparseL23gebsr2gebsr_fast_kernelIL20rocsparse_direction_1ELi16ELi16EfEEvii21rocsparse_index_base_PKT2_PKiS7_iiiiS2_PS3_PiS9_ii ; -- Begin function _ZN9rocsparseL23gebsr2gebsr_fast_kernelIL20rocsparse_direction_1ELi16ELi16EfEEvii21rocsparse_index_base_PKT2_PKiS7_iiiiS2_PS3_PiS9_ii
	.p2align	8
	.type	_ZN9rocsparseL23gebsr2gebsr_fast_kernelIL20rocsparse_direction_1ELi16ELi16EfEEvii21rocsparse_index_base_PKT2_PKiS7_iiiiS2_PS3_PiS9_ii,@function
_ZN9rocsparseL23gebsr2gebsr_fast_kernelIL20rocsparse_direction_1ELi16ELi16EfEEvii21rocsparse_index_base_PKT2_PKiS7_iiiiS2_PS3_PiS9_ii: ; @_ZN9rocsparseL23gebsr2gebsr_fast_kernelIL20rocsparse_direction_1ELi16ELi16EfEEvii21rocsparse_index_base_PKT2_PKiS7_iiiiS2_PS3_PiS9_ii
; %bb.0:
	s_load_dwordx4 s[8:11], s[4:5], 0x28
	s_load_dword s33, s[4:5], 0x38
	s_load_dwordx2 s[12:13], s[4:5], 0x58
	s_load_dword s3, s[4:5], 0x0
	s_load_dword s38, s[4:5], 0x8
	s_mov_b32 s39, 0
	s_waitcnt lgkmcnt(0)
	s_abs_i32 s2, s8
	v_cvt_f32_u32_e32 v1, s2
	s_sub_i32 s0, 0, s2
	v_cmp_gt_i32_e32 vcc, s12, v0
	v_mov_b32_e32 v7, 0
	v_rcp_iflag_f32_e32 v1, v1
	v_mov_b32_e32 v8, 0
	v_mul_f32_e32 v1, 0x4f7ffffe, v1
	v_cvt_u32_f32_e32 v2, v1
	v_mul_lo_u32 v1, s0, v2
	s_mul_i32 s0, s12, s6
	v_mul_hi_u32 v3, v2, v1
	v_add_u32_e32 v1, s0, v0
	v_sub_u32_e32 v4, 0, v1
	v_max_i32_e32 v5, v1, v4
	v_add_u32_e32 v2, v2, v3
	v_mul_hi_u32 v2, v5, v2
	v_xor_b32_e32 v4, s8, v1
	v_ashrrev_i32_e32 v4, 31, v4
	v_mul_lo_u32 v3, v2, s2
	v_add_u32_e32 v6, 1, v2
	v_sub_u32_e32 v3, v5, v3
	v_cmp_le_u32_e64 s[0:1], s2, v3
	v_subrev_u32_e32 v5, s2, v3
	v_cndmask_b32_e64 v2, v2, v6, s[0:1]
	v_cndmask_b32_e64 v3, v3, v5, s[0:1]
	v_add_u32_e32 v5, 1, v2
	v_cmp_le_u32_e64 s[0:1], s2, v3
	v_cndmask_b32_e64 v2, v2, v5, s[0:1]
	v_xor_b32_e32 v5, v2, v4
	v_sub_u32_e32 v2, v5, v4
	v_cmp_gt_i32_e64 s[0:1], s3, v2
	s_and_b64 s[2:3], vcc, s[0:1]
	s_and_saveexec_b64 s[0:1], s[2:3]
	s_cbranch_execnz .LBB16_3
; %bb.1:
	s_or_b64 exec, exec, s[0:1]
	s_cmp_ge_i32 s6, s10
	s_cbranch_scc0 .LBB16_4
.LBB16_2:
	s_cmp_lt_i32 s11, 1
	s_cbranch_scc0 .LBB16_5
	s_branch .LBB16_31
.LBB16_3:
	s_load_dwordx2 s[2:3], s[4:5], 0x18
	v_ashrrev_i32_e32 v3, 31, v2
	v_lshlrev_b64 v[2:3], 2, v[2:3]
	s_waitcnt lgkmcnt(0)
	v_mov_b32_e32 v6, s3
	v_add_co_u32_e32 v2, vcc, s2, v2
	v_addc_co_u32_e32 v3, vcc, v6, v3, vcc
	global_load_dwordx2 v[2:3], v[2:3], off
	s_waitcnt vmcnt(0)
	v_subrev_u32_e32 v8, s38, v2
	v_subrev_u32_e32 v7, s38, v3
	s_or_b64 exec, exec, s[0:1]
	s_cmp_ge_i32 s6, s10
	s_cbranch_scc1 .LBB16_2
.LBB16_4:
	s_load_dwordx2 s[0:1], s[4:5], 0x48
	s_ashr_i32 s7, s6, 31
	s_lshl_b64 s[2:3], s[6:7], 2
	s_waitcnt lgkmcnt(0)
	s_add_u32 s0, s0, s2
	s_addc_u32 s1, s1, s3
	s_load_dword s0, s[0:1], 0x0
	s_waitcnt lgkmcnt(0)
	s_sub_i32 s39, s0, s33
	s_cmp_lt_i32 s11, 1
	s_cbranch_scc1 .LBB16_31
.LBB16_5:
	s_cmp_gt_i32 s9, 0
	s_cselect_b64 s[2:3], -1, 0
	s_abs_i32 s10, s13
	v_cvt_f32_u32_e32 v2, s10
	s_load_dwordx2 s[6:7], s[4:5], 0x50
	s_load_dwordx2 s[14:15], s[4:5], 0x40
	;; [unrolled: 1-line block ×4, first 2 shown]
	s_sub_i32 s4, 0, s10
	v_mbcnt_lo_u32_b32 v6, -1, 0
	v_rcp_iflag_f32_e32 v2, v2
	v_mbcnt_hi_u32_b32 v6, -1, v6
	v_cmp_eq_u32_e64 s[0:1], 15, v0
	s_mul_i32 s40, s9, s8
	v_mul_f32_e32 v2, 0x4f7ffffe, v2
	v_cvt_u32_f32_e32 v3, v2
	v_sub_u32_e32 v2, v4, v5
	v_mov_b32_e32 v5, 0
	s_add_i32 s41, s39, -1
	v_mul_lo_u32 v4, s4, v3
	s_ashr_i32 s42, s13, 31
	v_lshl_or_b32 v9, v6, 2, 60
	s_mov_b64 s[4:5], 0
	v_mul_hi_u32 v4, v3, v4
	v_mov_b32_e32 v11, 0
	v_add_u32_e32 v10, v3, v4
	v_cndmask_b32_e64 v3, 0, 1, s[2:3]
	v_cmp_ne_u32_e64 s[2:3], 1, v3
	s_branch .LBB16_7
.LBB16_6:                               ;   in Loop: Header=BB16_7 Depth=1
	s_or_b64 exec, exec, s[20:21]
	s_waitcnt lgkmcnt(0)
	v_add_u32_e32 v5, 1, v12
	v_cmp_le_i32_e32 vcc, s11, v5
	s_or_b64 s[4:5], vcc, s[4:5]
	s_andn2_b64 exec, exec, s[4:5]
	s_cbranch_execz .LBB16_31
.LBB16_7:                               ; =>This Loop Header: Depth=1
                                        ;     Child Loop BB16_11 Depth 2
                                        ;       Child Loop BB16_13 Depth 3
                                        ;     Child Loop BB16_21 Depth 2
                                        ;       Child Loop BB16_24 Depth 3
	v_cmp_lt_i32_e32 vcc, v8, v7
	v_mov_b32_e32 v6, s11
	s_and_saveexec_b64 s[20:21], vcc
	s_cbranch_execz .LBB16_16
; %bb.8:                                ;   in Loop: Header=BB16_7 Depth=1
	s_mov_b64 s[22:23], 0
	v_mov_b32_e32 v6, s11
	v_mov_b32_e32 v3, v8
	s_branch .LBB16_11
.LBB16_9:                               ;   in Loop: Header=BB16_11 Depth=2
	s_mov_b64 s[24:25], 0
.LBB16_10:                              ;   in Loop: Header=BB16_11 Depth=2
	v_add_u32_e32 v3, 1, v3
	v_cmp_ge_i32_e32 vcc, v3, v7
	s_or_b64 s[24:25], s[24:25], vcc
	s_and_b64 s[24:25], exec, s[24:25]
	s_or_b64 s[22:23], s[24:25], s[22:23]
	s_andn2_b64 exec, exec, s[22:23]
	s_cbranch_execz .LBB16_15
.LBB16_11:                              ;   Parent Loop BB16_7 Depth=1
                                        ; =>  This Loop Header: Depth=2
                                        ;       Child Loop BB16_13 Depth 3
	s_and_b64 vcc, exec, s[2:3]
	s_cbranch_vccnz .LBB16_9
; %bb.12:                               ;   in Loop: Header=BB16_11 Depth=2
	v_ashrrev_i32_e32 v4, 31, v3
	v_lshlrev_b64 v[12:13], 2, v[3:4]
	s_waitcnt lgkmcnt(0)
	v_mov_b32_e32 v4, s19
	v_add_co_u32_e32 v12, vcc, s18, v12
	v_addc_co_u32_e32 v13, vcc, v4, v13, vcc
	global_load_dword v4, v[12:13], off
	s_mov_b32 s30, 0
	s_mov_b64 s[28:29], 0
	s_mov_b64 s[26:27], 0
                                        ; implicit-def: $sgpr24_sgpr25
	s_waitcnt vmcnt(0)
	v_subrev_u32_e32 v4, s38, v4
	v_mul_lo_u32 v4, v4, s9
.LBB16_13:                              ;   Parent Loop BB16_7 Depth=1
                                        ;     Parent Loop BB16_11 Depth=2
                                        ; =>    This Inner Loop Header: Depth=3
	v_add_u32_e32 v12, s30, v4
	v_sub_u32_e32 v14, 0, v12
	v_ashrrev_i32_e32 v13, 31, v12
	v_max_i32_e32 v12, v12, v14
	v_mul_hi_u32 v14, v12, v10
	v_xor_b32_e32 v13, s42, v13
	s_add_i32 s30, s30, 1
	v_mul_lo_u32 v15, v14, s10
	v_add_u32_e32 v16, 1, v14
	v_sub_u32_e32 v12, v12, v15
	v_cmp_le_u32_e32 vcc, s10, v12
	v_subrev_u32_e32 v15, s10, v12
	v_cndmask_b32_e32 v14, v14, v16, vcc
	v_cndmask_b32_e32 v12, v12, v15, vcc
	v_add_u32_e32 v15, 1, v14
	v_cmp_le_u32_e32 vcc, s10, v12
	v_cndmask_b32_e32 v12, v14, v15, vcc
	v_xor_b32_e32 v12, v12, v13
	v_sub_u32_e32 v12, v12, v13
	v_cmp_ge_i32_e32 vcc, v12, v5
	s_or_b64 s[28:29], vcc, s[28:29]
	s_cmp_ge_i32 s30, s9
	s_cselect_b64 s[34:35], -1, 0
	s_or_b64 s[34:35], vcc, s[34:35]
	s_and_b64 s[34:35], exec, s[34:35]
	s_or_b64 s[26:27], s[34:35], s[26:27]
	s_andn2_b64 s[24:25], s[24:25], exec
	s_and_b64 s[34:35], s[28:29], exec
	v_cndmask_b32_e32 v6, v6, v12, vcc
	v_cndmask_b32_e32 v8, v8, v3, vcc
	s_or_b64 s[24:25], s[24:25], s[34:35]
	s_andn2_b64 exec, exec, s[26:27]
	s_cbranch_execnz .LBB16_13
; %bb.14:                               ;   in Loop: Header=BB16_11 Depth=2
	s_or_b64 exec, exec, s[26:27]
	s_branch .LBB16_10
.LBB16_15:                              ;   in Loop: Header=BB16_7 Depth=1
	s_or_b64 exec, exec, s[22:23]
.LBB16_16:                              ;   in Loop: Header=BB16_7 Depth=1
	s_or_b64 exec, exec, s[20:21]
	v_mov_b32_dpp v3, v6 row_shr:1 row_mask:0xf bank_mask:0xf
	v_min_i32_e32 v3, v3, v6
	s_nop 1
	v_mov_b32_dpp v4, v3 row_shr:2 row_mask:0xf bank_mask:0xf
	v_min_i32_e32 v3, v4, v3
	s_nop 1
	;; [unrolled: 3-line block ×3, first 2 shown]
	v_mov_b32_dpp v4, v3 row_shr:8 row_mask:0xf bank_mask:0xc
	v_min_i32_e32 v3, v4, v3
	v_cmp_gt_i32_e32 vcc, s11, v3
	s_and_b64 s[22:23], s[0:1], vcc
	s_and_saveexec_b64 s[20:21], s[22:23]
	s_cbranch_execz .LBB16_18
; %bb.17:                               ;   in Loop: Header=BB16_7 Depth=1
	v_add_u32_e32 v4, s39, v11
	v_ashrrev_i32_e32 v5, 31, v4
	v_lshlrev_b64 v[4:5], 2, v[4:5]
	v_add_u32_e32 v6, 1, v11
	s_waitcnt lgkmcnt(0)
	v_mov_b32_e32 v11, s7
	v_add_co_u32_e32 v4, vcc, s6, v4
	v_addc_co_u32_e32 v5, vcc, v11, v5, vcc
	v_add_u32_e32 v11, s33, v3
	global_store_dword v[4:5], v11, off
	v_mov_b32_e32 v11, v6
.LBB16_18:                              ;   in Loop: Header=BB16_7 Depth=1
	s_or_b64 exec, exec, s[20:21]
	ds_bpermute_b32 v12, v9, v3
	ds_bpermute_b32 v11, v9, v11
	v_cmp_lt_i32_e32 vcc, v8, v7
	s_and_saveexec_b64 s[20:21], vcc
	s_cbranch_execz .LBB16_6
; %bb.19:                               ;   in Loop: Header=BB16_7 Depth=1
	v_mad_u64_u32 v[3:4], s[22:23], s9, v8, v[2:3]
	s_waitcnt lgkmcnt(0)
	v_add_u32_e32 v5, s41, v11
	v_mul_lo_u32 v13, v5, s13
	v_mul_lo_u32 v14, v12, s13
	v_mad_u64_u32 v[3:4], s[22:23], s8, v3, v[1:2]
	s_mov_b64 s[22:23], 0
	v_mov_b32_e32 v4, v8
	s_branch .LBB16_21
.LBB16_20:                              ;   in Loop: Header=BB16_21 Depth=2
	s_or_b64 exec, exec, s[28:29]
	s_and_b64 s[24:25], exec, s[24:25]
	s_or_b64 s[22:23], s[24:25], s[22:23]
	s_andn2_b64 exec, exec, s[22:23]
	s_cbranch_execz .LBB16_6
.LBB16_21:                              ;   Parent Loop BB16_7 Depth=1
                                        ; =>  This Loop Header: Depth=2
                                        ;       Child Loop BB16_24 Depth 3
	s_mov_b64 s[24:25], -1
	s_and_b64 vcc, exec, s[2:3]
	s_mov_b64 s[26:27], -1
	s_cbranch_vccnz .LBB16_29
; %bb.22:                               ;   in Loop: Header=BB16_21 Depth=2
	v_ashrrev_i32_e32 v5, 31, v4
	v_lshlrev_b64 v[5:6], 2, v[4:5]
	v_mov_b32_e32 v15, s19
	v_add_co_u32_e32 v5, vcc, s18, v5
	v_addc_co_u32_e32 v6, vcc, v15, v6, vcc
	global_load_dword v5, v[5:6], off
	s_mov_b64 s[28:29], 0
	s_mov_b32 s43, s9
                                        ; implicit-def: $sgpr26_sgpr27
	s_waitcnt vmcnt(0)
	v_subrev_u32_e32 v5, s38, v5
	v_mul_lo_u32 v15, v5, s9
	v_mov_b32_e32 v5, v3
	s_branch .LBB16_24
.LBB16_23:                              ;   in Loop: Header=BB16_24 Depth=3
	s_or_b64 exec, exec, s[36:37]
	s_xor_b64 s[34:35], s[34:35], -1
	s_and_b64 s[30:31], exec, s[30:31]
	s_or_b64 s[28:29], s[30:31], s[28:29]
	s_andn2_b64 s[26:27], s[26:27], exec
	s_and_b64 s[30:31], s[34:35], exec
	s_or_b64 s[26:27], s[26:27], s[30:31]
	s_andn2_b64 exec, exec, s[28:29]
	s_cbranch_execz .LBB16_28
.LBB16_24:                              ;   Parent Loop BB16_7 Depth=1
                                        ;     Parent Loop BB16_21 Depth=2
                                        ; =>    This Inner Loop Header: Depth=3
	v_sub_u32_e32 v6, 0, v15
	v_max_i32_e32 v6, v15, v6
	v_mul_hi_u32 v16, v6, v10
	v_ashrrev_i32_e32 v18, 31, v15
	v_xor_b32_e32 v18, s42, v18
	v_mul_lo_u32 v17, v16, s10
	v_add_u32_e32 v19, 1, v16
	v_sub_u32_e32 v6, v6, v17
	v_cmp_le_u32_e32 vcc, s10, v6
	v_subrev_u32_e32 v17, s10, v6
	v_cndmask_b32_e32 v16, v16, v19, vcc
	v_cndmask_b32_e32 v6, v6, v17, vcc
	v_add_u32_e32 v17, 1, v16
	v_cmp_le_u32_e32 vcc, s10, v6
	v_cndmask_b32_e32 v6, v16, v17, vcc
	v_xor_b32_e32 v6, v6, v18
	v_sub_u32_e32 v16, v6, v18
	v_cmp_eq_u32_e32 vcc, v16, v12
	s_and_saveexec_b64 s[30:31], vcc
	s_cbranch_execz .LBB16_26
; %bb.25:                               ;   in Loop: Header=BB16_24 Depth=3
	v_ashrrev_i32_e32 v6, 31, v5
	v_lshlrev_b64 v[17:18], 2, v[5:6]
	v_mov_b32_e32 v6, s17
	v_add_co_u32_e32 v17, vcc, s16, v17
	v_addc_co_u32_e32 v18, vcc, v6, v18, vcc
	global_load_dword v6, v[17:18], off
	v_sub_u32_e32 v17, v15, v14
	v_add_u32_e32 v17, v17, v13
	v_mad_u64_u32 v[17:18], s[34:35], v17, s12, v[0:1]
	v_mov_b32_e32 v19, s15
	v_ashrrev_i32_e32 v18, 31, v17
	v_lshlrev_b64 v[17:18], 2, v[17:18]
	v_add_co_u32_e32 v17, vcc, s14, v17
	v_addc_co_u32_e32 v18, vcc, v19, v18, vcc
	s_waitcnt vmcnt(0)
	global_store_dword v[17:18], v6, off
.LBB16_26:                              ;   in Loop: Header=BB16_24 Depth=3
	s_or_b64 exec, exec, s[30:31]
	v_cmp_le_i32_e32 vcc, v16, v12
	s_mov_b64 s[30:31], -1
	s_mov_b64 s[34:35], -1
	s_and_saveexec_b64 s[36:37], vcc
	s_cbranch_execz .LBB16_23
; %bb.27:                               ;   in Loop: Header=BB16_24 Depth=3
	s_add_i32 s43, s43, -1
	s_cmp_eq_u32 s43, 0
	s_cselect_b64 s[30:31], -1, 0
	v_add_u32_e32 v15, 1, v15
	v_add_u32_e32 v5, s8, v5
	s_xor_b64 s[34:35], exec, -1
	s_orn2_b64 s[30:31], s[30:31], exec
	s_branch .LBB16_23
.LBB16_28:                              ;   in Loop: Header=BB16_21 Depth=2
	s_or_b64 exec, exec, s[28:29]
.LBB16_29:                              ;   in Loop: Header=BB16_21 Depth=2
	s_and_saveexec_b64 s[28:29], s[26:27]
	s_cbranch_execz .LBB16_20
; %bb.30:                               ;   in Loop: Header=BB16_21 Depth=2
	v_add_u32_e32 v4, 1, v4
	v_cmp_ge_i32_e32 vcc, v4, v7
	v_add_u32_e32 v3, s40, v3
	s_orn2_b64 s[24:25], vcc, exec
	s_branch .LBB16_20
.LBB16_31:
	s_endpgm
	.section	.rodata,"a",@progbits
	.p2align	6, 0x0
	.amdhsa_kernel _ZN9rocsparseL23gebsr2gebsr_fast_kernelIL20rocsparse_direction_1ELi16ELi16EfEEvii21rocsparse_index_base_PKT2_PKiS7_iiiiS2_PS3_PiS9_ii
		.amdhsa_group_segment_fixed_size 0
		.amdhsa_private_segment_fixed_size 0
		.amdhsa_kernarg_size 96
		.amdhsa_user_sgpr_count 6
		.amdhsa_user_sgpr_private_segment_buffer 1
		.amdhsa_user_sgpr_dispatch_ptr 0
		.amdhsa_user_sgpr_queue_ptr 0
		.amdhsa_user_sgpr_kernarg_segment_ptr 1
		.amdhsa_user_sgpr_dispatch_id 0
		.amdhsa_user_sgpr_flat_scratch_init 0
		.amdhsa_user_sgpr_private_segment_size 0
		.amdhsa_uses_dynamic_stack 0
		.amdhsa_system_sgpr_private_segment_wavefront_offset 0
		.amdhsa_system_sgpr_workgroup_id_x 1
		.amdhsa_system_sgpr_workgroup_id_y 0
		.amdhsa_system_sgpr_workgroup_id_z 0
		.amdhsa_system_sgpr_workgroup_info 0
		.amdhsa_system_vgpr_workitem_id 0
		.amdhsa_next_free_vgpr 20
		.amdhsa_next_free_sgpr 44
		.amdhsa_reserve_vcc 1
		.amdhsa_reserve_flat_scratch 0
		.amdhsa_float_round_mode_32 0
		.amdhsa_float_round_mode_16_64 0
		.amdhsa_float_denorm_mode_32 3
		.amdhsa_float_denorm_mode_16_64 3
		.amdhsa_dx10_clamp 1
		.amdhsa_ieee_mode 1
		.amdhsa_fp16_overflow 0
		.amdhsa_exception_fp_ieee_invalid_op 0
		.amdhsa_exception_fp_denorm_src 0
		.amdhsa_exception_fp_ieee_div_zero 0
		.amdhsa_exception_fp_ieee_overflow 0
		.amdhsa_exception_fp_ieee_underflow 0
		.amdhsa_exception_fp_ieee_inexact 0
		.amdhsa_exception_int_div_zero 0
	.end_amdhsa_kernel
	.section	.text._ZN9rocsparseL23gebsr2gebsr_fast_kernelIL20rocsparse_direction_1ELi16ELi16EfEEvii21rocsparse_index_base_PKT2_PKiS7_iiiiS2_PS3_PiS9_ii,"axG",@progbits,_ZN9rocsparseL23gebsr2gebsr_fast_kernelIL20rocsparse_direction_1ELi16ELi16EfEEvii21rocsparse_index_base_PKT2_PKiS7_iiiiS2_PS3_PiS9_ii,comdat
.Lfunc_end16:
	.size	_ZN9rocsparseL23gebsr2gebsr_fast_kernelIL20rocsparse_direction_1ELi16ELi16EfEEvii21rocsparse_index_base_PKT2_PKiS7_iiiiS2_PS3_PiS9_ii, .Lfunc_end16-_ZN9rocsparseL23gebsr2gebsr_fast_kernelIL20rocsparse_direction_1ELi16ELi16EfEEvii21rocsparse_index_base_PKT2_PKiS7_iiiiS2_PS3_PiS9_ii
                                        ; -- End function
	.set _ZN9rocsparseL23gebsr2gebsr_fast_kernelIL20rocsparse_direction_1ELi16ELi16EfEEvii21rocsparse_index_base_PKT2_PKiS7_iiiiS2_PS3_PiS9_ii.num_vgpr, 20
	.set _ZN9rocsparseL23gebsr2gebsr_fast_kernelIL20rocsparse_direction_1ELi16ELi16EfEEvii21rocsparse_index_base_PKT2_PKiS7_iiiiS2_PS3_PiS9_ii.num_agpr, 0
	.set _ZN9rocsparseL23gebsr2gebsr_fast_kernelIL20rocsparse_direction_1ELi16ELi16EfEEvii21rocsparse_index_base_PKT2_PKiS7_iiiiS2_PS3_PiS9_ii.numbered_sgpr, 44
	.set _ZN9rocsparseL23gebsr2gebsr_fast_kernelIL20rocsparse_direction_1ELi16ELi16EfEEvii21rocsparse_index_base_PKT2_PKiS7_iiiiS2_PS3_PiS9_ii.num_named_barrier, 0
	.set _ZN9rocsparseL23gebsr2gebsr_fast_kernelIL20rocsparse_direction_1ELi16ELi16EfEEvii21rocsparse_index_base_PKT2_PKiS7_iiiiS2_PS3_PiS9_ii.private_seg_size, 0
	.set _ZN9rocsparseL23gebsr2gebsr_fast_kernelIL20rocsparse_direction_1ELi16ELi16EfEEvii21rocsparse_index_base_PKT2_PKiS7_iiiiS2_PS3_PiS9_ii.uses_vcc, 1
	.set _ZN9rocsparseL23gebsr2gebsr_fast_kernelIL20rocsparse_direction_1ELi16ELi16EfEEvii21rocsparse_index_base_PKT2_PKiS7_iiiiS2_PS3_PiS9_ii.uses_flat_scratch, 0
	.set _ZN9rocsparseL23gebsr2gebsr_fast_kernelIL20rocsparse_direction_1ELi16ELi16EfEEvii21rocsparse_index_base_PKT2_PKiS7_iiiiS2_PS3_PiS9_ii.has_dyn_sized_stack, 0
	.set _ZN9rocsparseL23gebsr2gebsr_fast_kernelIL20rocsparse_direction_1ELi16ELi16EfEEvii21rocsparse_index_base_PKT2_PKiS7_iiiiS2_PS3_PiS9_ii.has_recursion, 0
	.set _ZN9rocsparseL23gebsr2gebsr_fast_kernelIL20rocsparse_direction_1ELi16ELi16EfEEvii21rocsparse_index_base_PKT2_PKiS7_iiiiS2_PS3_PiS9_ii.has_indirect_call, 0
	.section	.AMDGPU.csdata,"",@progbits
; Kernel info:
; codeLenInByte = 1476
; TotalNumSgprs: 48
; NumVgprs: 20
; ScratchSize: 0
; MemoryBound: 0
; FloatMode: 240
; IeeeMode: 1
; LDSByteSize: 0 bytes/workgroup (compile time only)
; SGPRBlocks: 5
; VGPRBlocks: 4
; NumSGPRsForWavesPerEU: 48
; NumVGPRsForWavesPerEU: 20
; Occupancy: 10
; WaveLimiterHint : 0
; COMPUTE_PGM_RSRC2:SCRATCH_EN: 0
; COMPUTE_PGM_RSRC2:USER_SGPR: 6
; COMPUTE_PGM_RSRC2:TRAP_HANDLER: 0
; COMPUTE_PGM_RSRC2:TGID_X_EN: 1
; COMPUTE_PGM_RSRC2:TGID_Y_EN: 0
; COMPUTE_PGM_RSRC2:TGID_Z_EN: 0
; COMPUTE_PGM_RSRC2:TIDIG_COMP_CNT: 0
	.section	.text._ZN9rocsparseL23gebsr2gebsr_fast_kernelIL20rocsparse_direction_1ELi32ELi32EfEEvii21rocsparse_index_base_PKT2_PKiS7_iiiiS2_PS3_PiS9_ii,"axG",@progbits,_ZN9rocsparseL23gebsr2gebsr_fast_kernelIL20rocsparse_direction_1ELi32ELi32EfEEvii21rocsparse_index_base_PKT2_PKiS7_iiiiS2_PS3_PiS9_ii,comdat
	.globl	_ZN9rocsparseL23gebsr2gebsr_fast_kernelIL20rocsparse_direction_1ELi32ELi32EfEEvii21rocsparse_index_base_PKT2_PKiS7_iiiiS2_PS3_PiS9_ii ; -- Begin function _ZN9rocsparseL23gebsr2gebsr_fast_kernelIL20rocsparse_direction_1ELi32ELi32EfEEvii21rocsparse_index_base_PKT2_PKiS7_iiiiS2_PS3_PiS9_ii
	.p2align	8
	.type	_ZN9rocsparseL23gebsr2gebsr_fast_kernelIL20rocsparse_direction_1ELi32ELi32EfEEvii21rocsparse_index_base_PKT2_PKiS7_iiiiS2_PS3_PiS9_ii,@function
_ZN9rocsparseL23gebsr2gebsr_fast_kernelIL20rocsparse_direction_1ELi32ELi32EfEEvii21rocsparse_index_base_PKT2_PKiS7_iiiiS2_PS3_PiS9_ii: ; @_ZN9rocsparseL23gebsr2gebsr_fast_kernelIL20rocsparse_direction_1ELi32ELi32EfEEvii21rocsparse_index_base_PKT2_PKiS7_iiiiS2_PS3_PiS9_ii
; %bb.0:
	s_load_dwordx4 s[8:11], s[4:5], 0x28
	s_load_dword s33, s[4:5], 0x38
	s_load_dwordx2 s[12:13], s[4:5], 0x58
	s_load_dword s3, s[4:5], 0x0
	s_load_dword s38, s[4:5], 0x8
	s_mov_b32 s39, 0
	s_waitcnt lgkmcnt(0)
	s_abs_i32 s2, s8
	v_cvt_f32_u32_e32 v1, s2
	s_sub_i32 s0, 0, s2
	v_cmp_gt_i32_e32 vcc, s12, v0
	v_mov_b32_e32 v7, 0
	v_rcp_iflag_f32_e32 v1, v1
	v_mov_b32_e32 v8, 0
	v_mul_f32_e32 v1, 0x4f7ffffe, v1
	v_cvt_u32_f32_e32 v2, v1
	v_mul_lo_u32 v1, s0, v2
	s_mul_i32 s0, s12, s6
	v_mul_hi_u32 v3, v2, v1
	v_add_u32_e32 v1, s0, v0
	v_sub_u32_e32 v4, 0, v1
	v_max_i32_e32 v5, v1, v4
	v_add_u32_e32 v2, v2, v3
	v_mul_hi_u32 v2, v5, v2
	v_xor_b32_e32 v4, s8, v1
	v_ashrrev_i32_e32 v4, 31, v4
	v_mul_lo_u32 v3, v2, s2
	v_add_u32_e32 v6, 1, v2
	v_sub_u32_e32 v3, v5, v3
	v_cmp_le_u32_e64 s[0:1], s2, v3
	v_subrev_u32_e32 v5, s2, v3
	v_cndmask_b32_e64 v2, v2, v6, s[0:1]
	v_cndmask_b32_e64 v3, v3, v5, s[0:1]
	v_add_u32_e32 v5, 1, v2
	v_cmp_le_u32_e64 s[0:1], s2, v3
	v_cndmask_b32_e64 v2, v2, v5, s[0:1]
	v_xor_b32_e32 v5, v2, v4
	v_sub_u32_e32 v2, v5, v4
	v_cmp_gt_i32_e64 s[0:1], s3, v2
	s_and_b64 s[2:3], vcc, s[0:1]
	s_and_saveexec_b64 s[0:1], s[2:3]
	s_cbranch_execnz .LBB17_3
; %bb.1:
	s_or_b64 exec, exec, s[0:1]
	s_cmp_ge_i32 s6, s10
	s_cbranch_scc0 .LBB17_4
.LBB17_2:
	s_cmp_lt_i32 s11, 1
	s_cbranch_scc0 .LBB17_5
	s_branch .LBB17_31
.LBB17_3:
	s_load_dwordx2 s[2:3], s[4:5], 0x18
	v_ashrrev_i32_e32 v3, 31, v2
	v_lshlrev_b64 v[2:3], 2, v[2:3]
	s_waitcnt lgkmcnt(0)
	v_mov_b32_e32 v6, s3
	v_add_co_u32_e32 v2, vcc, s2, v2
	v_addc_co_u32_e32 v3, vcc, v6, v3, vcc
	global_load_dwordx2 v[2:3], v[2:3], off
	s_waitcnt vmcnt(0)
	v_subrev_u32_e32 v8, s38, v2
	v_subrev_u32_e32 v7, s38, v3
	s_or_b64 exec, exec, s[0:1]
	s_cmp_ge_i32 s6, s10
	s_cbranch_scc1 .LBB17_2
.LBB17_4:
	s_load_dwordx2 s[0:1], s[4:5], 0x48
	s_ashr_i32 s7, s6, 31
	s_lshl_b64 s[2:3], s[6:7], 2
	s_waitcnt lgkmcnt(0)
	s_add_u32 s0, s0, s2
	s_addc_u32 s1, s1, s3
	s_load_dword s0, s[0:1], 0x0
	s_waitcnt lgkmcnt(0)
	s_sub_i32 s39, s0, s33
	s_cmp_lt_i32 s11, 1
	s_cbranch_scc1 .LBB17_31
.LBB17_5:
	s_cmp_gt_i32 s9, 0
	s_cselect_b64 s[2:3], -1, 0
	s_abs_i32 s10, s13
	v_cvt_f32_u32_e32 v2, s10
	s_load_dwordx2 s[6:7], s[4:5], 0x50
	s_load_dwordx2 s[14:15], s[4:5], 0x40
	;; [unrolled: 1-line block ×4, first 2 shown]
	s_sub_i32 s4, 0, s10
	v_mbcnt_lo_u32_b32 v6, -1, 0
	v_rcp_iflag_f32_e32 v2, v2
	v_mov_b32_e32 v9, 0x7c
	v_cmp_eq_u32_e64 s[0:1], 31, v0
	s_mul_i32 s40, s9, s8
	v_mul_f32_e32 v2, 0x4f7ffffe, v2
	v_cvt_u32_f32_e32 v3, v2
	v_sub_u32_e32 v2, v4, v5
	v_mbcnt_hi_u32_b32 v4, -1, v6
	s_add_i32 s41, s39, -1
	v_mul_lo_u32 v10, s4, v3
	s_ashr_i32 s42, s13, 31
	v_lshl_or_b32 v9, v4, 2, v9
	s_mov_b64 s[4:5], 0
	v_mul_hi_u32 v5, v3, v10
	v_mov_b32_e32 v11, 0
	v_add_u32_e32 v10, v3, v5
	v_cndmask_b32_e64 v3, 0, 1, s[2:3]
	v_mov_b32_e32 v5, 0
	v_cmp_ne_u32_e64 s[2:3], 1, v3
	s_branch .LBB17_7
.LBB17_6:                               ;   in Loop: Header=BB17_7 Depth=1
	s_or_b64 exec, exec, s[20:21]
	s_waitcnt lgkmcnt(0)
	v_add_u32_e32 v5, 1, v12
	v_cmp_le_i32_e32 vcc, s11, v5
	s_or_b64 s[4:5], vcc, s[4:5]
	s_andn2_b64 exec, exec, s[4:5]
	s_cbranch_execz .LBB17_31
.LBB17_7:                               ; =>This Loop Header: Depth=1
                                        ;     Child Loop BB17_11 Depth 2
                                        ;       Child Loop BB17_13 Depth 3
                                        ;     Child Loop BB17_21 Depth 2
                                        ;       Child Loop BB17_24 Depth 3
	v_cmp_lt_i32_e32 vcc, v8, v7
	v_mov_b32_e32 v6, s11
	s_and_saveexec_b64 s[20:21], vcc
	s_cbranch_execz .LBB17_16
; %bb.8:                                ;   in Loop: Header=BB17_7 Depth=1
	s_mov_b64 s[22:23], 0
	v_mov_b32_e32 v6, s11
	v_mov_b32_e32 v3, v8
	s_branch .LBB17_11
.LBB17_9:                               ;   in Loop: Header=BB17_11 Depth=2
	s_mov_b64 s[24:25], 0
.LBB17_10:                              ;   in Loop: Header=BB17_11 Depth=2
	v_add_u32_e32 v3, 1, v3
	v_cmp_ge_i32_e32 vcc, v3, v7
	s_or_b64 s[24:25], s[24:25], vcc
	s_and_b64 s[24:25], exec, s[24:25]
	s_or_b64 s[22:23], s[24:25], s[22:23]
	s_andn2_b64 exec, exec, s[22:23]
	s_cbranch_execz .LBB17_15
.LBB17_11:                              ;   Parent Loop BB17_7 Depth=1
                                        ; =>  This Loop Header: Depth=2
                                        ;       Child Loop BB17_13 Depth 3
	s_and_b64 vcc, exec, s[2:3]
	s_cbranch_vccnz .LBB17_9
; %bb.12:                               ;   in Loop: Header=BB17_11 Depth=2
	v_ashrrev_i32_e32 v4, 31, v3
	v_lshlrev_b64 v[12:13], 2, v[3:4]
	s_waitcnt lgkmcnt(0)
	v_mov_b32_e32 v4, s19
	v_add_co_u32_e32 v12, vcc, s18, v12
	v_addc_co_u32_e32 v13, vcc, v4, v13, vcc
	global_load_dword v4, v[12:13], off
	s_mov_b32 s30, 0
	s_mov_b64 s[28:29], 0
	s_mov_b64 s[26:27], 0
                                        ; implicit-def: $sgpr24_sgpr25
	s_waitcnt vmcnt(0)
	v_subrev_u32_e32 v4, s38, v4
	v_mul_lo_u32 v4, v4, s9
.LBB17_13:                              ;   Parent Loop BB17_7 Depth=1
                                        ;     Parent Loop BB17_11 Depth=2
                                        ; =>    This Inner Loop Header: Depth=3
	v_add_u32_e32 v12, s30, v4
	v_sub_u32_e32 v14, 0, v12
	v_ashrrev_i32_e32 v13, 31, v12
	v_max_i32_e32 v12, v12, v14
	v_mul_hi_u32 v14, v12, v10
	v_xor_b32_e32 v13, s42, v13
	s_add_i32 s30, s30, 1
	v_mul_lo_u32 v15, v14, s10
	v_add_u32_e32 v16, 1, v14
	v_sub_u32_e32 v12, v12, v15
	v_cmp_le_u32_e32 vcc, s10, v12
	v_subrev_u32_e32 v15, s10, v12
	v_cndmask_b32_e32 v14, v14, v16, vcc
	v_cndmask_b32_e32 v12, v12, v15, vcc
	v_add_u32_e32 v15, 1, v14
	v_cmp_le_u32_e32 vcc, s10, v12
	v_cndmask_b32_e32 v12, v14, v15, vcc
	v_xor_b32_e32 v12, v12, v13
	v_sub_u32_e32 v12, v12, v13
	v_cmp_ge_i32_e32 vcc, v12, v5
	s_or_b64 s[28:29], vcc, s[28:29]
	s_cmp_ge_i32 s30, s9
	s_cselect_b64 s[34:35], -1, 0
	s_or_b64 s[34:35], vcc, s[34:35]
	s_and_b64 s[34:35], exec, s[34:35]
	s_or_b64 s[26:27], s[34:35], s[26:27]
	s_andn2_b64 s[24:25], s[24:25], exec
	s_and_b64 s[34:35], s[28:29], exec
	v_cndmask_b32_e32 v6, v6, v12, vcc
	v_cndmask_b32_e32 v8, v8, v3, vcc
	s_or_b64 s[24:25], s[24:25], s[34:35]
	s_andn2_b64 exec, exec, s[26:27]
	s_cbranch_execnz .LBB17_13
; %bb.14:                               ;   in Loop: Header=BB17_11 Depth=2
	s_or_b64 exec, exec, s[26:27]
	s_branch .LBB17_10
.LBB17_15:                              ;   in Loop: Header=BB17_7 Depth=1
	s_or_b64 exec, exec, s[22:23]
.LBB17_16:                              ;   in Loop: Header=BB17_7 Depth=1
	s_or_b64 exec, exec, s[20:21]
	v_mov_b32_dpp v3, v6 row_shr:1 row_mask:0xf bank_mask:0xf
	v_min_i32_e32 v3, v3, v6
	s_nop 1
	v_mov_b32_dpp v4, v3 row_shr:2 row_mask:0xf bank_mask:0xf
	v_min_i32_e32 v3, v4, v3
	s_nop 1
	;; [unrolled: 3-line block ×4, first 2 shown]
	v_mov_b32_dpp v4, v3 row_bcast:15 row_mask:0xa bank_mask:0xf
	v_min_i32_e32 v3, v4, v3
	v_cmp_gt_i32_e32 vcc, s11, v3
	s_and_b64 s[22:23], s[0:1], vcc
	s_and_saveexec_b64 s[20:21], s[22:23]
	s_cbranch_execz .LBB17_18
; %bb.17:                               ;   in Loop: Header=BB17_7 Depth=1
	v_add_u32_e32 v4, s39, v11
	v_ashrrev_i32_e32 v5, 31, v4
	v_lshlrev_b64 v[4:5], 2, v[4:5]
	v_add_u32_e32 v6, 1, v11
	s_waitcnt lgkmcnt(0)
	v_mov_b32_e32 v11, s7
	v_add_co_u32_e32 v4, vcc, s6, v4
	v_addc_co_u32_e32 v5, vcc, v11, v5, vcc
	v_add_u32_e32 v11, s33, v3
	global_store_dword v[4:5], v11, off
	v_mov_b32_e32 v11, v6
.LBB17_18:                              ;   in Loop: Header=BB17_7 Depth=1
	s_or_b64 exec, exec, s[20:21]
	ds_bpermute_b32 v12, v9, v3
	ds_bpermute_b32 v11, v9, v11
	v_cmp_lt_i32_e32 vcc, v8, v7
	s_and_saveexec_b64 s[20:21], vcc
	s_cbranch_execz .LBB17_6
; %bb.19:                               ;   in Loop: Header=BB17_7 Depth=1
	v_mad_u64_u32 v[3:4], s[22:23], s9, v8, v[2:3]
	s_waitcnt lgkmcnt(0)
	v_add_u32_e32 v5, s41, v11
	v_mul_lo_u32 v13, v5, s13
	v_mul_lo_u32 v14, v12, s13
	v_mad_u64_u32 v[3:4], s[22:23], s8, v3, v[1:2]
	s_mov_b64 s[22:23], 0
	v_mov_b32_e32 v4, v8
	s_branch .LBB17_21
.LBB17_20:                              ;   in Loop: Header=BB17_21 Depth=2
	s_or_b64 exec, exec, s[28:29]
	s_and_b64 s[24:25], exec, s[24:25]
	s_or_b64 s[22:23], s[24:25], s[22:23]
	s_andn2_b64 exec, exec, s[22:23]
	s_cbranch_execz .LBB17_6
.LBB17_21:                              ;   Parent Loop BB17_7 Depth=1
                                        ; =>  This Loop Header: Depth=2
                                        ;       Child Loop BB17_24 Depth 3
	s_mov_b64 s[24:25], -1
	s_and_b64 vcc, exec, s[2:3]
	s_mov_b64 s[26:27], -1
	s_cbranch_vccnz .LBB17_29
; %bb.22:                               ;   in Loop: Header=BB17_21 Depth=2
	v_ashrrev_i32_e32 v5, 31, v4
	v_lshlrev_b64 v[5:6], 2, v[4:5]
	v_mov_b32_e32 v15, s19
	v_add_co_u32_e32 v5, vcc, s18, v5
	v_addc_co_u32_e32 v6, vcc, v15, v6, vcc
	global_load_dword v5, v[5:6], off
	s_mov_b64 s[28:29], 0
	s_mov_b32 s43, s9
                                        ; implicit-def: $sgpr26_sgpr27
	s_waitcnt vmcnt(0)
	v_subrev_u32_e32 v5, s38, v5
	v_mul_lo_u32 v15, v5, s9
	v_mov_b32_e32 v5, v3
	s_branch .LBB17_24
.LBB17_23:                              ;   in Loop: Header=BB17_24 Depth=3
	s_or_b64 exec, exec, s[36:37]
	s_xor_b64 s[34:35], s[34:35], -1
	s_and_b64 s[30:31], exec, s[30:31]
	s_or_b64 s[28:29], s[30:31], s[28:29]
	s_andn2_b64 s[26:27], s[26:27], exec
	s_and_b64 s[30:31], s[34:35], exec
	s_or_b64 s[26:27], s[26:27], s[30:31]
	s_andn2_b64 exec, exec, s[28:29]
	s_cbranch_execz .LBB17_28
.LBB17_24:                              ;   Parent Loop BB17_7 Depth=1
                                        ;     Parent Loop BB17_21 Depth=2
                                        ; =>    This Inner Loop Header: Depth=3
	v_sub_u32_e32 v6, 0, v15
	v_max_i32_e32 v6, v15, v6
	v_mul_hi_u32 v16, v6, v10
	v_ashrrev_i32_e32 v18, 31, v15
	v_xor_b32_e32 v18, s42, v18
	v_mul_lo_u32 v17, v16, s10
	v_add_u32_e32 v19, 1, v16
	v_sub_u32_e32 v6, v6, v17
	v_cmp_le_u32_e32 vcc, s10, v6
	v_subrev_u32_e32 v17, s10, v6
	v_cndmask_b32_e32 v16, v16, v19, vcc
	v_cndmask_b32_e32 v6, v6, v17, vcc
	v_add_u32_e32 v17, 1, v16
	v_cmp_le_u32_e32 vcc, s10, v6
	v_cndmask_b32_e32 v6, v16, v17, vcc
	v_xor_b32_e32 v6, v6, v18
	v_sub_u32_e32 v16, v6, v18
	v_cmp_eq_u32_e32 vcc, v16, v12
	s_and_saveexec_b64 s[30:31], vcc
	s_cbranch_execz .LBB17_26
; %bb.25:                               ;   in Loop: Header=BB17_24 Depth=3
	v_ashrrev_i32_e32 v6, 31, v5
	v_lshlrev_b64 v[17:18], 2, v[5:6]
	v_mov_b32_e32 v6, s17
	v_add_co_u32_e32 v17, vcc, s16, v17
	v_addc_co_u32_e32 v18, vcc, v6, v18, vcc
	global_load_dword v6, v[17:18], off
	v_sub_u32_e32 v17, v15, v14
	v_add_u32_e32 v17, v17, v13
	v_mad_u64_u32 v[17:18], s[34:35], v17, s12, v[0:1]
	v_mov_b32_e32 v19, s15
	v_ashrrev_i32_e32 v18, 31, v17
	v_lshlrev_b64 v[17:18], 2, v[17:18]
	v_add_co_u32_e32 v17, vcc, s14, v17
	v_addc_co_u32_e32 v18, vcc, v19, v18, vcc
	s_waitcnt vmcnt(0)
	global_store_dword v[17:18], v6, off
.LBB17_26:                              ;   in Loop: Header=BB17_24 Depth=3
	s_or_b64 exec, exec, s[30:31]
	v_cmp_le_i32_e32 vcc, v16, v12
	s_mov_b64 s[30:31], -1
	s_mov_b64 s[34:35], -1
	s_and_saveexec_b64 s[36:37], vcc
	s_cbranch_execz .LBB17_23
; %bb.27:                               ;   in Loop: Header=BB17_24 Depth=3
	s_add_i32 s43, s43, -1
	s_cmp_eq_u32 s43, 0
	s_cselect_b64 s[30:31], -1, 0
	v_add_u32_e32 v15, 1, v15
	v_add_u32_e32 v5, s8, v5
	s_xor_b64 s[34:35], exec, -1
	s_orn2_b64 s[30:31], s[30:31], exec
	s_branch .LBB17_23
.LBB17_28:                              ;   in Loop: Header=BB17_21 Depth=2
	s_or_b64 exec, exec, s[28:29]
.LBB17_29:                              ;   in Loop: Header=BB17_21 Depth=2
	s_and_saveexec_b64 s[28:29], s[26:27]
	s_cbranch_execz .LBB17_20
; %bb.30:                               ;   in Loop: Header=BB17_21 Depth=2
	v_add_u32_e32 v4, 1, v4
	v_cmp_ge_i32_e32 vcc, v4, v7
	v_add_u32_e32 v3, s40, v3
	s_orn2_b64 s[24:25], vcc, exec
	s_branch .LBB17_20
.LBB17_31:
	s_endpgm
	.section	.rodata,"a",@progbits
	.p2align	6, 0x0
	.amdhsa_kernel _ZN9rocsparseL23gebsr2gebsr_fast_kernelIL20rocsparse_direction_1ELi32ELi32EfEEvii21rocsparse_index_base_PKT2_PKiS7_iiiiS2_PS3_PiS9_ii
		.amdhsa_group_segment_fixed_size 0
		.amdhsa_private_segment_fixed_size 0
		.amdhsa_kernarg_size 96
		.amdhsa_user_sgpr_count 6
		.amdhsa_user_sgpr_private_segment_buffer 1
		.amdhsa_user_sgpr_dispatch_ptr 0
		.amdhsa_user_sgpr_queue_ptr 0
		.amdhsa_user_sgpr_kernarg_segment_ptr 1
		.amdhsa_user_sgpr_dispatch_id 0
		.amdhsa_user_sgpr_flat_scratch_init 0
		.amdhsa_user_sgpr_private_segment_size 0
		.amdhsa_uses_dynamic_stack 0
		.amdhsa_system_sgpr_private_segment_wavefront_offset 0
		.amdhsa_system_sgpr_workgroup_id_x 1
		.amdhsa_system_sgpr_workgroup_id_y 0
		.amdhsa_system_sgpr_workgroup_id_z 0
		.amdhsa_system_sgpr_workgroup_info 0
		.amdhsa_system_vgpr_workitem_id 0
		.amdhsa_next_free_vgpr 20
		.amdhsa_next_free_sgpr 44
		.amdhsa_reserve_vcc 1
		.amdhsa_reserve_flat_scratch 0
		.amdhsa_float_round_mode_32 0
		.amdhsa_float_round_mode_16_64 0
		.amdhsa_float_denorm_mode_32 3
		.amdhsa_float_denorm_mode_16_64 3
		.amdhsa_dx10_clamp 1
		.amdhsa_ieee_mode 1
		.amdhsa_fp16_overflow 0
		.amdhsa_exception_fp_ieee_invalid_op 0
		.amdhsa_exception_fp_denorm_src 0
		.amdhsa_exception_fp_ieee_div_zero 0
		.amdhsa_exception_fp_ieee_overflow 0
		.amdhsa_exception_fp_ieee_underflow 0
		.amdhsa_exception_fp_ieee_inexact 0
		.amdhsa_exception_int_div_zero 0
	.end_amdhsa_kernel
	.section	.text._ZN9rocsparseL23gebsr2gebsr_fast_kernelIL20rocsparse_direction_1ELi32ELi32EfEEvii21rocsparse_index_base_PKT2_PKiS7_iiiiS2_PS3_PiS9_ii,"axG",@progbits,_ZN9rocsparseL23gebsr2gebsr_fast_kernelIL20rocsparse_direction_1ELi32ELi32EfEEvii21rocsparse_index_base_PKT2_PKiS7_iiiiS2_PS3_PiS9_ii,comdat
.Lfunc_end17:
	.size	_ZN9rocsparseL23gebsr2gebsr_fast_kernelIL20rocsparse_direction_1ELi32ELi32EfEEvii21rocsparse_index_base_PKT2_PKiS7_iiiiS2_PS3_PiS9_ii, .Lfunc_end17-_ZN9rocsparseL23gebsr2gebsr_fast_kernelIL20rocsparse_direction_1ELi32ELi32EfEEvii21rocsparse_index_base_PKT2_PKiS7_iiiiS2_PS3_PiS9_ii
                                        ; -- End function
	.set _ZN9rocsparseL23gebsr2gebsr_fast_kernelIL20rocsparse_direction_1ELi32ELi32EfEEvii21rocsparse_index_base_PKT2_PKiS7_iiiiS2_PS3_PiS9_ii.num_vgpr, 20
	.set _ZN9rocsparseL23gebsr2gebsr_fast_kernelIL20rocsparse_direction_1ELi32ELi32EfEEvii21rocsparse_index_base_PKT2_PKiS7_iiiiS2_PS3_PiS9_ii.num_agpr, 0
	.set _ZN9rocsparseL23gebsr2gebsr_fast_kernelIL20rocsparse_direction_1ELi32ELi32EfEEvii21rocsparse_index_base_PKT2_PKiS7_iiiiS2_PS3_PiS9_ii.numbered_sgpr, 44
	.set _ZN9rocsparseL23gebsr2gebsr_fast_kernelIL20rocsparse_direction_1ELi32ELi32EfEEvii21rocsparse_index_base_PKT2_PKiS7_iiiiS2_PS3_PiS9_ii.num_named_barrier, 0
	.set _ZN9rocsparseL23gebsr2gebsr_fast_kernelIL20rocsparse_direction_1ELi32ELi32EfEEvii21rocsparse_index_base_PKT2_PKiS7_iiiiS2_PS3_PiS9_ii.private_seg_size, 0
	.set _ZN9rocsparseL23gebsr2gebsr_fast_kernelIL20rocsparse_direction_1ELi32ELi32EfEEvii21rocsparse_index_base_PKT2_PKiS7_iiiiS2_PS3_PiS9_ii.uses_vcc, 1
	.set _ZN9rocsparseL23gebsr2gebsr_fast_kernelIL20rocsparse_direction_1ELi32ELi32EfEEvii21rocsparse_index_base_PKT2_PKiS7_iiiiS2_PS3_PiS9_ii.uses_flat_scratch, 0
	.set _ZN9rocsparseL23gebsr2gebsr_fast_kernelIL20rocsparse_direction_1ELi32ELi32EfEEvii21rocsparse_index_base_PKT2_PKiS7_iiiiS2_PS3_PiS9_ii.has_dyn_sized_stack, 0
	.set _ZN9rocsparseL23gebsr2gebsr_fast_kernelIL20rocsparse_direction_1ELi32ELi32EfEEvii21rocsparse_index_base_PKT2_PKiS7_iiiiS2_PS3_PiS9_ii.has_recursion, 0
	.set _ZN9rocsparseL23gebsr2gebsr_fast_kernelIL20rocsparse_direction_1ELi32ELi32EfEEvii21rocsparse_index_base_PKT2_PKiS7_iiiiS2_PS3_PiS9_ii.has_indirect_call, 0
	.section	.AMDGPU.csdata,"",@progbits
; Kernel info:
; codeLenInByte = 1500
; TotalNumSgprs: 48
; NumVgprs: 20
; ScratchSize: 0
; MemoryBound: 0
; FloatMode: 240
; IeeeMode: 1
; LDSByteSize: 0 bytes/workgroup (compile time only)
; SGPRBlocks: 5
; VGPRBlocks: 4
; NumSGPRsForWavesPerEU: 48
; NumVGPRsForWavesPerEU: 20
; Occupancy: 10
; WaveLimiterHint : 0
; COMPUTE_PGM_RSRC2:SCRATCH_EN: 0
; COMPUTE_PGM_RSRC2:USER_SGPR: 6
; COMPUTE_PGM_RSRC2:TRAP_HANDLER: 0
; COMPUTE_PGM_RSRC2:TGID_X_EN: 1
; COMPUTE_PGM_RSRC2:TGID_Y_EN: 0
; COMPUTE_PGM_RSRC2:TGID_Z_EN: 0
; COMPUTE_PGM_RSRC2:TIDIG_COMP_CNT: 0
	.section	.text._ZN9rocsparseL23gebsr2gebsr_fast_kernelIL20rocsparse_direction_0ELi16ELi2EdEEvii21rocsparse_index_base_PKT2_PKiS7_iiiiS2_PS3_PiS9_ii,"axG",@progbits,_ZN9rocsparseL23gebsr2gebsr_fast_kernelIL20rocsparse_direction_0ELi16ELi2EdEEvii21rocsparse_index_base_PKT2_PKiS7_iiiiS2_PS3_PiS9_ii,comdat
	.globl	_ZN9rocsparseL23gebsr2gebsr_fast_kernelIL20rocsparse_direction_0ELi16ELi2EdEEvii21rocsparse_index_base_PKT2_PKiS7_iiiiS2_PS3_PiS9_ii ; -- Begin function _ZN9rocsparseL23gebsr2gebsr_fast_kernelIL20rocsparse_direction_0ELi16ELi2EdEEvii21rocsparse_index_base_PKT2_PKiS7_iiiiS2_PS3_PiS9_ii
	.p2align	8
	.type	_ZN9rocsparseL23gebsr2gebsr_fast_kernelIL20rocsparse_direction_0ELi16ELi2EdEEvii21rocsparse_index_base_PKT2_PKiS7_iiiiS2_PS3_PiS9_ii,@function
_ZN9rocsparseL23gebsr2gebsr_fast_kernelIL20rocsparse_direction_0ELi16ELi2EdEEvii21rocsparse_index_base_PKT2_PKiS7_iiiiS2_PS3_PiS9_ii: ; @_ZN9rocsparseL23gebsr2gebsr_fast_kernelIL20rocsparse_direction_0ELi16ELi2EdEEvii21rocsparse_index_base_PKT2_PKiS7_iiiiS2_PS3_PiS9_ii
; %bb.0:
	s_load_dwordx4 s[8:11], s[4:5], 0x28
	s_load_dword s33, s[4:5], 0x38
	s_load_dwordx2 s[12:13], s[4:5], 0x58
	v_lshrrev_b32_e32 v4, 1, v0
	s_lshl_b32 s2, s6, 3
	s_waitcnt lgkmcnt(0)
	s_abs_i32 s3, s8
	v_cvt_f32_u32_e32 v1, s3
	s_sub_i32 s0, 0, s3
	v_and_b32_e32 v0, 1, v0
	s_load_dword s6, s[4:5], 0x0
	s_load_dword s38, s[4:5], 0x8
	v_rcp_iflag_f32_e32 v1, v1
	v_cmp_gt_i32_e32 vcc, s12, v0
	v_mul_f32_e32 v1, 0x4f7ffffe, v1
	v_cvt_u32_f32_e32 v5, v1
	v_or_b32_e32 v1, s2, v4
	v_mul_lo_u32 v6, s0, v5
	v_mad_u64_u32 v[2:3], s[0:1], v1, s12, v[0:1]
	v_mul_hi_u32 v3, v5, v6
	v_sub_u32_e32 v6, 0, v2
	v_max_i32_e32 v7, v2, v6
	v_xor_b32_e32 v2, s8, v2
	v_add_u32_e32 v3, v5, v3
	v_mul_hi_u32 v3, v7, v3
	v_ashrrev_i32_e32 v11, 31, v2
	v_mov_b32_e32 v5, 0
	v_mov_b32_e32 v6, 0
	v_mul_lo_u32 v8, v3, s3
	v_add_u32_e32 v2, 1, v3
	v_sub_u32_e32 v7, v7, v8
	v_cmp_le_u32_e64 s[0:1], s3, v7
	v_cndmask_b32_e64 v2, v3, v2, s[0:1]
	v_subrev_u32_e32 v3, s3, v7
	v_cndmask_b32_e64 v3, v7, v3, s[0:1]
	v_add_u32_e32 v7, 1, v2
	v_cmp_le_u32_e64 s[0:1], s3, v3
	v_cndmask_b32_e64 v2, v2, v7, s[0:1]
	v_xor_b32_e32 v12, v2, v11
	v_sub_u32_e32 v2, v12, v11
	s_waitcnt lgkmcnt(0)
	v_cmp_gt_i32_e64 s[0:1], s6, v2
	s_and_b64 s[6:7], vcc, s[0:1]
	v_mov_b32_e32 v7, 0
	s_and_saveexec_b64 s[0:1], s[6:7]
	s_cbranch_execnz .LBB18_3
; %bb.1:
	s_or_b64 exec, exec, s[0:1]
	v_cmp_gt_i32_e32 vcc, s10, v1
	s_and_saveexec_b64 s[0:1], vcc
	s_cbranch_execnz .LBB18_4
.LBB18_2:
	s_or_b64 exec, exec, s[0:1]
	s_cmp_lt_i32 s11, 1
	s_cbranch_scc0 .LBB18_5
	s_branch .LBB18_31
.LBB18_3:
	s_load_dwordx2 s[6:7], s[4:5], 0x18
	v_ashrrev_i32_e32 v3, 31, v2
	v_lshlrev_b64 v[2:3], 2, v[2:3]
	s_waitcnt lgkmcnt(0)
	v_mov_b32_e32 v6, s7
	v_add_co_u32_e32 v2, vcc, s6, v2
	v_addc_co_u32_e32 v3, vcc, v6, v3, vcc
	global_load_dwordx2 v[2:3], v[2:3], off
	s_waitcnt vmcnt(0)
	v_subrev_u32_e32 v7, s38, v2
	v_subrev_u32_e32 v6, s38, v3
	s_or_b64 exec, exec, s[0:1]
	v_cmp_gt_i32_e32 vcc, s10, v1
	s_and_saveexec_b64 s[0:1], vcc
	s_cbranch_execz .LBB18_2
.LBB18_4:
	s_load_dwordx2 s[6:7], s[4:5], 0x48
	v_ashrrev_i32_e32 v2, 31, v1
	v_lshlrev_b64 v[1:2], 2, v[1:2]
	s_waitcnt lgkmcnt(0)
	v_mov_b32_e32 v3, s7
	v_add_co_u32_e32 v1, vcc, s6, v1
	v_addc_co_u32_e32 v2, vcc, v3, v2, vcc
	global_load_dword v1, v[1:2], off
	s_waitcnt vmcnt(0)
	v_subrev_u32_e32 v5, s33, v1
	s_or_b64 exec, exec, s[0:1]
	s_cmp_lt_i32 s11, 1
	s_cbranch_scc1 .LBB18_31
.LBB18_5:
	s_cmp_gt_i32 s9, 0
	s_cselect_b64 s[20:21], -1, 0
	s_abs_i32 s10, s13
	v_cvt_f32_u32_e32 v1, s10
	s_sub_i32 s3, 0, s10
	s_load_dwordx2 s[6:7], s[4:5], 0x50
	s_load_dwordx2 s[14:15], s[4:5], 0x40
	;; [unrolled: 1-line block ×4, first 2 shown]
	v_add_u32_e32 v4, s2, v4
	v_rcp_iflag_f32_e32 v1, v1
	v_cmp_ne_u32_e64 s[0:1], 0, v0
	v_add_u32_e32 v8, -1, v5
	s_ashr_i32 s39, s13, 31
	v_mul_f32_e32 v1, 0x4f7ffffe, v1
	v_cvt_u32_f32_e32 v3, v1
	v_mbcnt_lo_u32_b32 v1, -1, 0
	v_mbcnt_hi_u32_b32 v9, -1, v1
	v_lshl_or_b32 v9, v9, 2, 4
	v_mul_lo_u32 v2, s3, v3
	v_sub_u32_e32 v11, v11, v12
	s_mul_i32 s40, s9, s8
	s_mov_b64 s[4:5], 0
	v_mul_hi_u32 v10, v3, v2
	v_mad_u64_u32 v[1:2], s[2:3], s12, v4, v[0:1]
	v_cndmask_b32_e64 v2, 0, 1, s[20:21]
	v_add_u32_e32 v10, v3, v10
	v_mov_b32_e32 v4, 0
	v_cmp_ne_u32_e64 s[2:3], 1, v2
	v_mov_b32_e32 v12, 0
	s_branch .LBB18_7
.LBB18_6:                               ;   in Loop: Header=BB18_7 Depth=1
	s_or_b64 exec, exec, s[20:21]
	s_waitcnt lgkmcnt(0)
	v_add_u32_e32 v4, 1, v13
	v_cmp_le_i32_e32 vcc, s11, v4
	s_or_b64 s[4:5], vcc, s[4:5]
	s_andn2_b64 exec, exec, s[4:5]
	s_cbranch_execz .LBB18_31
.LBB18_7:                               ; =>This Loop Header: Depth=1
                                        ;     Child Loop BB18_11 Depth 2
                                        ;       Child Loop BB18_13 Depth 3
                                        ;     Child Loop BB18_21 Depth 2
                                        ;       Child Loop BB18_24 Depth 3
	v_cmp_lt_i32_e32 vcc, v7, v6
	v_mov_b32_e32 v13, s11
	s_and_saveexec_b64 s[20:21], vcc
	s_cbranch_execz .LBB18_16
; %bb.8:                                ;   in Loop: Header=BB18_7 Depth=1
	s_mov_b64 s[22:23], 0
	v_mov_b32_e32 v13, s11
	v_mov_b32_e32 v2, v7
	s_branch .LBB18_11
.LBB18_9:                               ;   in Loop: Header=BB18_11 Depth=2
	s_mov_b64 s[24:25], 0
.LBB18_10:                              ;   in Loop: Header=BB18_11 Depth=2
	v_add_u32_e32 v2, 1, v2
	v_cmp_ge_i32_e32 vcc, v2, v6
	s_or_b64 s[24:25], s[24:25], vcc
	s_and_b64 s[24:25], exec, s[24:25]
	s_or_b64 s[22:23], s[24:25], s[22:23]
	s_andn2_b64 exec, exec, s[22:23]
	s_cbranch_execz .LBB18_15
.LBB18_11:                              ;   Parent Loop BB18_7 Depth=1
                                        ; =>  This Loop Header: Depth=2
                                        ;       Child Loop BB18_13 Depth 3
	s_and_b64 vcc, exec, s[2:3]
	s_cbranch_vccnz .LBB18_9
; %bb.12:                               ;   in Loop: Header=BB18_11 Depth=2
	v_ashrrev_i32_e32 v3, 31, v2
	v_lshlrev_b64 v[14:15], 2, v[2:3]
	s_waitcnt lgkmcnt(0)
	v_mov_b32_e32 v3, s19
	v_add_co_u32_e32 v14, vcc, s18, v14
	v_addc_co_u32_e32 v15, vcc, v3, v15, vcc
	global_load_dword v3, v[14:15], off
	s_mov_b32 s30, 0
	s_mov_b64 s[28:29], 0
	s_mov_b64 s[26:27], 0
                                        ; implicit-def: $sgpr24_sgpr25
	s_waitcnt vmcnt(0)
	v_subrev_u32_e32 v3, s38, v3
	v_mul_lo_u32 v3, v3, s9
.LBB18_13:                              ;   Parent Loop BB18_7 Depth=1
                                        ;     Parent Loop BB18_11 Depth=2
                                        ; =>    This Inner Loop Header: Depth=3
	v_add_u32_e32 v14, s30, v3
	v_sub_u32_e32 v16, 0, v14
	v_ashrrev_i32_e32 v15, 31, v14
	v_max_i32_e32 v14, v14, v16
	v_mul_hi_u32 v16, v14, v10
	v_xor_b32_e32 v15, s39, v15
	s_add_i32 s30, s30, 1
	v_mul_lo_u32 v17, v16, s10
	v_add_u32_e32 v18, 1, v16
	v_sub_u32_e32 v14, v14, v17
	v_cmp_le_u32_e32 vcc, s10, v14
	v_subrev_u32_e32 v17, s10, v14
	v_cndmask_b32_e32 v16, v16, v18, vcc
	v_cndmask_b32_e32 v14, v14, v17, vcc
	v_add_u32_e32 v17, 1, v16
	v_cmp_le_u32_e32 vcc, s10, v14
	v_cndmask_b32_e32 v14, v16, v17, vcc
	v_xor_b32_e32 v14, v14, v15
	v_sub_u32_e32 v14, v14, v15
	v_cmp_ge_i32_e32 vcc, v14, v4
	s_or_b64 s[28:29], vcc, s[28:29]
	s_cmp_ge_i32 s30, s9
	s_cselect_b64 s[34:35], -1, 0
	s_or_b64 s[34:35], vcc, s[34:35]
	s_and_b64 s[34:35], exec, s[34:35]
	s_or_b64 s[26:27], s[34:35], s[26:27]
	s_andn2_b64 s[24:25], s[24:25], exec
	s_and_b64 s[34:35], s[28:29], exec
	v_cndmask_b32_e32 v13, v13, v14, vcc
	v_cndmask_b32_e32 v7, v7, v2, vcc
	s_or_b64 s[24:25], s[24:25], s[34:35]
	s_andn2_b64 exec, exec, s[26:27]
	s_cbranch_execnz .LBB18_13
; %bb.14:                               ;   in Loop: Header=BB18_11 Depth=2
	s_or_b64 exec, exec, s[26:27]
	s_branch .LBB18_10
.LBB18_15:                              ;   in Loop: Header=BB18_7 Depth=1
	s_or_b64 exec, exec, s[22:23]
.LBB18_16:                              ;   in Loop: Header=BB18_7 Depth=1
	s_or_b64 exec, exec, s[20:21]
	v_mov_b32_dpp v2, v13 row_shr:1 row_mask:0xf bank_mask:0xf
	v_min_i32_e32 v2, v2, v13
	v_cmp_gt_i32_e32 vcc, s11, v2
	s_and_b64 s[22:23], s[0:1], vcc
	s_and_saveexec_b64 s[20:21], s[22:23]
	s_cbranch_execz .LBB18_18
; %bb.17:                               ;   in Loop: Header=BB18_7 Depth=1
	v_add_u32_e32 v3, v12, v5
	v_ashrrev_i32_e32 v4, 31, v3
	v_lshlrev_b64 v[3:4], 2, v[3:4]
	v_add_u32_e32 v13, 1, v12
	s_waitcnt lgkmcnt(0)
	v_mov_b32_e32 v12, s7
	v_add_co_u32_e32 v3, vcc, s6, v3
	v_addc_co_u32_e32 v4, vcc, v12, v4, vcc
	v_add_u32_e32 v12, s33, v2
	global_store_dword v[3:4], v12, off
	v_mov_b32_e32 v12, v13
.LBB18_18:                              ;   in Loop: Header=BB18_7 Depth=1
	s_or_b64 exec, exec, s[20:21]
	ds_bpermute_b32 v13, v9, v2
	ds_bpermute_b32 v12, v9, v12
	v_cmp_lt_i32_e32 vcc, v7, v6
	s_and_saveexec_b64 s[20:21], vcc
	s_cbranch_execz .LBB18_6
; %bb.19:                               ;   in Loop: Header=BB18_7 Depth=1
	s_waitcnt lgkmcnt(0)
	v_add_u32_e32 v2, v8, v12
	v_mad_u64_u32 v[2:3], s[22:23], v2, s12, v[0:1]
	v_add_u32_e32 v3, v11, v7
	v_mul_lo_u32 v15, v13, s13
	v_mad_u64_u32 v[3:4], s[22:23], s8, v3, v[1:2]
	v_mul_lo_u32 v14, v2, s13
	s_mov_b64 s[22:23], 0
	v_mul_lo_u32 v16, s9, v3
	v_mov_b32_e32 v2, v7
	s_branch .LBB18_21
.LBB18_20:                              ;   in Loop: Header=BB18_21 Depth=2
	s_or_b64 exec, exec, s[28:29]
	s_and_b64 s[24:25], exec, s[24:25]
	s_or_b64 s[22:23], s[24:25], s[22:23]
	s_andn2_b64 exec, exec, s[22:23]
	s_cbranch_execz .LBB18_6
.LBB18_21:                              ;   Parent Loop BB18_7 Depth=1
                                        ; =>  This Loop Header: Depth=2
                                        ;       Child Loop BB18_24 Depth 3
	s_mov_b64 s[24:25], -1
	s_and_b64 vcc, exec, s[2:3]
	s_mov_b64 s[26:27], -1
	s_cbranch_vccnz .LBB18_29
; %bb.22:                               ;   in Loop: Header=BB18_21 Depth=2
	v_ashrrev_i32_e32 v3, 31, v2
	v_lshlrev_b64 v[3:4], 2, v[2:3]
	v_mov_b32_e32 v17, s19
	v_add_co_u32_e32 v3, vcc, s18, v3
	v_addc_co_u32_e32 v4, vcc, v17, v4, vcc
	global_load_dword v3, v[3:4], off
	s_mov_b64 s[28:29], 0
	s_mov_b32 s41, s9
                                        ; implicit-def: $sgpr26_sgpr27
	s_waitcnt vmcnt(0)
	v_subrev_u32_e32 v3, s38, v3
	v_mul_lo_u32 v17, v3, s9
	v_mov_b32_e32 v3, v16
	s_branch .LBB18_24
.LBB18_23:                              ;   in Loop: Header=BB18_24 Depth=3
	s_or_b64 exec, exec, s[36:37]
	s_xor_b64 s[34:35], s[34:35], -1
	s_and_b64 s[30:31], exec, s[30:31]
	s_or_b64 s[28:29], s[30:31], s[28:29]
	s_andn2_b64 s[26:27], s[26:27], exec
	s_and_b64 s[30:31], s[34:35], exec
	s_or_b64 s[26:27], s[26:27], s[30:31]
	s_andn2_b64 exec, exec, s[28:29]
	s_cbranch_execz .LBB18_28
.LBB18_24:                              ;   Parent Loop BB18_7 Depth=1
                                        ;     Parent Loop BB18_21 Depth=2
                                        ; =>    This Inner Loop Header: Depth=3
	v_sub_u32_e32 v4, 0, v17
	v_max_i32_e32 v4, v17, v4
	v_mul_hi_u32 v18, v4, v10
	v_ashrrev_i32_e32 v20, 31, v17
	v_xor_b32_e32 v20, s39, v20
	v_mul_lo_u32 v19, v18, s10
	v_add_u32_e32 v21, 1, v18
	v_sub_u32_e32 v4, v4, v19
	v_cmp_le_u32_e32 vcc, s10, v4
	v_subrev_u32_e32 v19, s10, v4
	v_cndmask_b32_e32 v18, v18, v21, vcc
	v_cndmask_b32_e32 v4, v4, v19, vcc
	v_add_u32_e32 v19, 1, v18
	v_cmp_le_u32_e32 vcc, s10, v4
	v_cndmask_b32_e32 v4, v18, v19, vcc
	v_xor_b32_e32 v4, v4, v20
	v_sub_u32_e32 v18, v4, v20
	v_cmp_eq_u32_e32 vcc, v18, v13
	s_and_saveexec_b64 s[30:31], vcc
	s_cbranch_execz .LBB18_26
; %bb.25:                               ;   in Loop: Header=BB18_24 Depth=3
	v_ashrrev_i32_e32 v4, 31, v3
	v_lshlrev_b64 v[19:20], 3, v[3:4]
	v_mov_b32_e32 v4, s17
	v_add_co_u32_e32 v19, vcc, s16, v19
	v_addc_co_u32_e32 v20, vcc, v4, v20, vcc
	global_load_dwordx2 v[19:20], v[19:20], off
	v_sub_u32_e32 v4, v17, v15
	v_add_u32_e32 v21, v4, v14
	v_ashrrev_i32_e32 v22, 31, v21
	v_lshlrev_b64 v[21:22], 3, v[21:22]
	v_mov_b32_e32 v4, s15
	v_add_co_u32_e32 v21, vcc, s14, v21
	v_addc_co_u32_e32 v22, vcc, v4, v22, vcc
	s_waitcnt vmcnt(0)
	global_store_dwordx2 v[21:22], v[19:20], off
.LBB18_26:                              ;   in Loop: Header=BB18_24 Depth=3
	s_or_b64 exec, exec, s[30:31]
	v_cmp_le_i32_e32 vcc, v18, v13
	s_mov_b64 s[30:31], -1
	s_mov_b64 s[34:35], -1
	s_and_saveexec_b64 s[36:37], vcc
	s_cbranch_execz .LBB18_23
; %bb.27:                               ;   in Loop: Header=BB18_24 Depth=3
	s_add_i32 s41, s41, -1
	s_cmp_eq_u32 s41, 0
	s_cselect_b64 s[30:31], -1, 0
	v_add_u32_e32 v17, 1, v17
	v_add_u32_e32 v3, 1, v3
	s_xor_b64 s[34:35], exec, -1
	s_orn2_b64 s[30:31], s[30:31], exec
	s_branch .LBB18_23
.LBB18_28:                              ;   in Loop: Header=BB18_21 Depth=2
	s_or_b64 exec, exec, s[28:29]
.LBB18_29:                              ;   in Loop: Header=BB18_21 Depth=2
	s_and_saveexec_b64 s[28:29], s[26:27]
	s_cbranch_execz .LBB18_20
; %bb.30:                               ;   in Loop: Header=BB18_21 Depth=2
	v_add_u32_e32 v2, 1, v2
	v_cmp_ge_i32_e32 vcc, v2, v6
	v_add_u32_e32 v16, s40, v16
	s_orn2_b64 s[24:25], vcc, exec
	s_branch .LBB18_20
.LBB18_31:
	s_endpgm
	.section	.rodata,"a",@progbits
	.p2align	6, 0x0
	.amdhsa_kernel _ZN9rocsparseL23gebsr2gebsr_fast_kernelIL20rocsparse_direction_0ELi16ELi2EdEEvii21rocsparse_index_base_PKT2_PKiS7_iiiiS2_PS3_PiS9_ii
		.amdhsa_group_segment_fixed_size 0
		.amdhsa_private_segment_fixed_size 0
		.amdhsa_kernarg_size 96
		.amdhsa_user_sgpr_count 6
		.amdhsa_user_sgpr_private_segment_buffer 1
		.amdhsa_user_sgpr_dispatch_ptr 0
		.amdhsa_user_sgpr_queue_ptr 0
		.amdhsa_user_sgpr_kernarg_segment_ptr 1
		.amdhsa_user_sgpr_dispatch_id 0
		.amdhsa_user_sgpr_flat_scratch_init 0
		.amdhsa_user_sgpr_private_segment_size 0
		.amdhsa_uses_dynamic_stack 0
		.amdhsa_system_sgpr_private_segment_wavefront_offset 0
		.amdhsa_system_sgpr_workgroup_id_x 1
		.amdhsa_system_sgpr_workgroup_id_y 0
		.amdhsa_system_sgpr_workgroup_id_z 0
		.amdhsa_system_sgpr_workgroup_info 0
		.amdhsa_system_vgpr_workitem_id 0
		.amdhsa_next_free_vgpr 23
		.amdhsa_next_free_sgpr 42
		.amdhsa_reserve_vcc 1
		.amdhsa_reserve_flat_scratch 0
		.amdhsa_float_round_mode_32 0
		.amdhsa_float_round_mode_16_64 0
		.amdhsa_float_denorm_mode_32 3
		.amdhsa_float_denorm_mode_16_64 3
		.amdhsa_dx10_clamp 1
		.amdhsa_ieee_mode 1
		.amdhsa_fp16_overflow 0
		.amdhsa_exception_fp_ieee_invalid_op 0
		.amdhsa_exception_fp_denorm_src 0
		.amdhsa_exception_fp_ieee_div_zero 0
		.amdhsa_exception_fp_ieee_overflow 0
		.amdhsa_exception_fp_ieee_underflow 0
		.amdhsa_exception_fp_ieee_inexact 0
		.amdhsa_exception_int_div_zero 0
	.end_amdhsa_kernel
	.section	.text._ZN9rocsparseL23gebsr2gebsr_fast_kernelIL20rocsparse_direction_0ELi16ELi2EdEEvii21rocsparse_index_base_PKT2_PKiS7_iiiiS2_PS3_PiS9_ii,"axG",@progbits,_ZN9rocsparseL23gebsr2gebsr_fast_kernelIL20rocsparse_direction_0ELi16ELi2EdEEvii21rocsparse_index_base_PKT2_PKiS7_iiiiS2_PS3_PiS9_ii,comdat
.Lfunc_end18:
	.size	_ZN9rocsparseL23gebsr2gebsr_fast_kernelIL20rocsparse_direction_0ELi16ELi2EdEEvii21rocsparse_index_base_PKT2_PKiS7_iiiiS2_PS3_PiS9_ii, .Lfunc_end18-_ZN9rocsparseL23gebsr2gebsr_fast_kernelIL20rocsparse_direction_0ELi16ELi2EdEEvii21rocsparse_index_base_PKT2_PKiS7_iiiiS2_PS3_PiS9_ii
                                        ; -- End function
	.set _ZN9rocsparseL23gebsr2gebsr_fast_kernelIL20rocsparse_direction_0ELi16ELi2EdEEvii21rocsparse_index_base_PKT2_PKiS7_iiiiS2_PS3_PiS9_ii.num_vgpr, 23
	.set _ZN9rocsparseL23gebsr2gebsr_fast_kernelIL20rocsparse_direction_0ELi16ELi2EdEEvii21rocsparse_index_base_PKT2_PKiS7_iiiiS2_PS3_PiS9_ii.num_agpr, 0
	.set _ZN9rocsparseL23gebsr2gebsr_fast_kernelIL20rocsparse_direction_0ELi16ELi2EdEEvii21rocsparse_index_base_PKT2_PKiS7_iiiiS2_PS3_PiS9_ii.numbered_sgpr, 42
	.set _ZN9rocsparseL23gebsr2gebsr_fast_kernelIL20rocsparse_direction_0ELi16ELi2EdEEvii21rocsparse_index_base_PKT2_PKiS7_iiiiS2_PS3_PiS9_ii.num_named_barrier, 0
	.set _ZN9rocsparseL23gebsr2gebsr_fast_kernelIL20rocsparse_direction_0ELi16ELi2EdEEvii21rocsparse_index_base_PKT2_PKiS7_iiiiS2_PS3_PiS9_ii.private_seg_size, 0
	.set _ZN9rocsparseL23gebsr2gebsr_fast_kernelIL20rocsparse_direction_0ELi16ELi2EdEEvii21rocsparse_index_base_PKT2_PKiS7_iiiiS2_PS3_PiS9_ii.uses_vcc, 1
	.set _ZN9rocsparseL23gebsr2gebsr_fast_kernelIL20rocsparse_direction_0ELi16ELi2EdEEvii21rocsparse_index_base_PKT2_PKiS7_iiiiS2_PS3_PiS9_ii.uses_flat_scratch, 0
	.set _ZN9rocsparseL23gebsr2gebsr_fast_kernelIL20rocsparse_direction_0ELi16ELi2EdEEvii21rocsparse_index_base_PKT2_PKiS7_iiiiS2_PS3_PiS9_ii.has_dyn_sized_stack, 0
	.set _ZN9rocsparseL23gebsr2gebsr_fast_kernelIL20rocsparse_direction_0ELi16ELi2EdEEvii21rocsparse_index_base_PKT2_PKiS7_iiiiS2_PS3_PiS9_ii.has_recursion, 0
	.set _ZN9rocsparseL23gebsr2gebsr_fast_kernelIL20rocsparse_direction_0ELi16ELi2EdEEvii21rocsparse_index_base_PKT2_PKiS7_iiiiS2_PS3_PiS9_ii.has_indirect_call, 0
	.section	.AMDGPU.csdata,"",@progbits
; Kernel info:
; codeLenInByte = 1488
; TotalNumSgprs: 46
; NumVgprs: 23
; ScratchSize: 0
; MemoryBound: 0
; FloatMode: 240
; IeeeMode: 1
; LDSByteSize: 0 bytes/workgroup (compile time only)
; SGPRBlocks: 5
; VGPRBlocks: 5
; NumSGPRsForWavesPerEU: 46
; NumVGPRsForWavesPerEU: 23
; Occupancy: 10
; WaveLimiterHint : 0
; COMPUTE_PGM_RSRC2:SCRATCH_EN: 0
; COMPUTE_PGM_RSRC2:USER_SGPR: 6
; COMPUTE_PGM_RSRC2:TRAP_HANDLER: 0
; COMPUTE_PGM_RSRC2:TGID_X_EN: 1
; COMPUTE_PGM_RSRC2:TGID_Y_EN: 0
; COMPUTE_PGM_RSRC2:TGID_Z_EN: 0
; COMPUTE_PGM_RSRC2:TIDIG_COMP_CNT: 0
	.section	.text._ZN9rocsparseL23gebsr2gebsr_fast_kernelIL20rocsparse_direction_0ELi16ELi4EdEEvii21rocsparse_index_base_PKT2_PKiS7_iiiiS2_PS3_PiS9_ii,"axG",@progbits,_ZN9rocsparseL23gebsr2gebsr_fast_kernelIL20rocsparse_direction_0ELi16ELi4EdEEvii21rocsparse_index_base_PKT2_PKiS7_iiiiS2_PS3_PiS9_ii,comdat
	.globl	_ZN9rocsparseL23gebsr2gebsr_fast_kernelIL20rocsparse_direction_0ELi16ELi4EdEEvii21rocsparse_index_base_PKT2_PKiS7_iiiiS2_PS3_PiS9_ii ; -- Begin function _ZN9rocsparseL23gebsr2gebsr_fast_kernelIL20rocsparse_direction_0ELi16ELi4EdEEvii21rocsparse_index_base_PKT2_PKiS7_iiiiS2_PS3_PiS9_ii
	.p2align	8
	.type	_ZN9rocsparseL23gebsr2gebsr_fast_kernelIL20rocsparse_direction_0ELi16ELi4EdEEvii21rocsparse_index_base_PKT2_PKiS7_iiiiS2_PS3_PiS9_ii,@function
_ZN9rocsparseL23gebsr2gebsr_fast_kernelIL20rocsparse_direction_0ELi16ELi4EdEEvii21rocsparse_index_base_PKT2_PKiS7_iiiiS2_PS3_PiS9_ii: ; @_ZN9rocsparseL23gebsr2gebsr_fast_kernelIL20rocsparse_direction_0ELi16ELi4EdEEvii21rocsparse_index_base_PKT2_PKiS7_iiiiS2_PS3_PiS9_ii
; %bb.0:
	s_load_dwordx4 s[8:11], s[4:5], 0x28
	s_load_dword s33, s[4:5], 0x38
	s_load_dwordx2 s[12:13], s[4:5], 0x58
	v_lshrrev_b32_e32 v4, 2, v0
	s_lshl_b32 s2, s6, 2
	s_waitcnt lgkmcnt(0)
	s_abs_i32 s3, s8
	v_cvt_f32_u32_e32 v1, s3
	s_sub_i32 s0, 0, s3
	v_and_b32_e32 v0, 3, v0
	s_load_dword s6, s[4:5], 0x0
	s_load_dword s38, s[4:5], 0x8
	v_rcp_iflag_f32_e32 v1, v1
	v_cmp_gt_i32_e32 vcc, s12, v0
	v_mul_f32_e32 v1, 0x4f7ffffe, v1
	v_cvt_u32_f32_e32 v5, v1
	v_or_b32_e32 v1, s2, v4
	v_mul_lo_u32 v6, s0, v5
	v_mad_u64_u32 v[2:3], s[0:1], v1, s12, v[0:1]
	v_mul_hi_u32 v3, v5, v6
	v_sub_u32_e32 v6, 0, v2
	v_max_i32_e32 v7, v2, v6
	v_xor_b32_e32 v2, s8, v2
	v_add_u32_e32 v3, v5, v3
	v_mul_hi_u32 v3, v7, v3
	v_ashrrev_i32_e32 v11, 31, v2
	v_mov_b32_e32 v5, 0
	v_mov_b32_e32 v6, 0
	v_mul_lo_u32 v8, v3, s3
	v_add_u32_e32 v2, 1, v3
	v_sub_u32_e32 v7, v7, v8
	v_cmp_le_u32_e64 s[0:1], s3, v7
	v_cndmask_b32_e64 v2, v3, v2, s[0:1]
	v_subrev_u32_e32 v3, s3, v7
	v_cndmask_b32_e64 v3, v7, v3, s[0:1]
	v_add_u32_e32 v7, 1, v2
	v_cmp_le_u32_e64 s[0:1], s3, v3
	v_cndmask_b32_e64 v2, v2, v7, s[0:1]
	v_xor_b32_e32 v12, v2, v11
	v_sub_u32_e32 v2, v12, v11
	s_waitcnt lgkmcnt(0)
	v_cmp_gt_i32_e64 s[0:1], s6, v2
	s_and_b64 s[6:7], vcc, s[0:1]
	v_mov_b32_e32 v7, 0
	s_and_saveexec_b64 s[0:1], s[6:7]
	s_cbranch_execnz .LBB19_3
; %bb.1:
	s_or_b64 exec, exec, s[0:1]
	v_cmp_gt_i32_e32 vcc, s10, v1
	s_and_saveexec_b64 s[0:1], vcc
	s_cbranch_execnz .LBB19_4
.LBB19_2:
	s_or_b64 exec, exec, s[0:1]
	s_cmp_lt_i32 s11, 1
	s_cbranch_scc0 .LBB19_5
	s_branch .LBB19_31
.LBB19_3:
	s_load_dwordx2 s[6:7], s[4:5], 0x18
	v_ashrrev_i32_e32 v3, 31, v2
	v_lshlrev_b64 v[2:3], 2, v[2:3]
	s_waitcnt lgkmcnt(0)
	v_mov_b32_e32 v6, s7
	v_add_co_u32_e32 v2, vcc, s6, v2
	v_addc_co_u32_e32 v3, vcc, v6, v3, vcc
	global_load_dwordx2 v[2:3], v[2:3], off
	s_waitcnt vmcnt(0)
	v_subrev_u32_e32 v7, s38, v2
	v_subrev_u32_e32 v6, s38, v3
	s_or_b64 exec, exec, s[0:1]
	v_cmp_gt_i32_e32 vcc, s10, v1
	s_and_saveexec_b64 s[0:1], vcc
	s_cbranch_execz .LBB19_2
.LBB19_4:
	s_load_dwordx2 s[6:7], s[4:5], 0x48
	v_ashrrev_i32_e32 v2, 31, v1
	v_lshlrev_b64 v[1:2], 2, v[1:2]
	s_waitcnt lgkmcnt(0)
	v_mov_b32_e32 v3, s7
	v_add_co_u32_e32 v1, vcc, s6, v1
	v_addc_co_u32_e32 v2, vcc, v3, v2, vcc
	global_load_dword v1, v[1:2], off
	s_waitcnt vmcnt(0)
	v_subrev_u32_e32 v5, s33, v1
	s_or_b64 exec, exec, s[0:1]
	s_cmp_lt_i32 s11, 1
	s_cbranch_scc1 .LBB19_31
.LBB19_5:
	s_cmp_gt_i32 s9, 0
	s_cselect_b64 s[20:21], -1, 0
	s_abs_i32 s10, s13
	v_cvt_f32_u32_e32 v1, s10
	s_sub_i32 s3, 0, s10
	s_load_dwordx2 s[6:7], s[4:5], 0x50
	s_load_dwordx2 s[14:15], s[4:5], 0x40
	;; [unrolled: 1-line block ×4, first 2 shown]
	v_add_u32_e32 v4, s2, v4
	v_rcp_iflag_f32_e32 v1, v1
	v_cmp_eq_u32_e64 s[0:1], 3, v0
	v_add_u32_e32 v8, -1, v5
	s_ashr_i32 s39, s13, 31
	v_mul_f32_e32 v1, 0x4f7ffffe, v1
	v_cvt_u32_f32_e32 v3, v1
	v_mbcnt_lo_u32_b32 v1, -1, 0
	v_mbcnt_hi_u32_b32 v9, -1, v1
	v_lshl_or_b32 v9, v9, 2, 12
	v_mul_lo_u32 v2, s3, v3
	v_sub_u32_e32 v11, v11, v12
	s_mul_i32 s40, s9, s8
	s_mov_b64 s[4:5], 0
	v_mul_hi_u32 v10, v3, v2
	v_mad_u64_u32 v[1:2], s[2:3], s12, v4, v[0:1]
	v_cndmask_b32_e64 v2, 0, 1, s[20:21]
	v_add_u32_e32 v10, v3, v10
	v_mov_b32_e32 v4, 0
	v_cmp_ne_u32_e64 s[2:3], 1, v2
	v_mov_b32_e32 v12, 0
	s_branch .LBB19_7
.LBB19_6:                               ;   in Loop: Header=BB19_7 Depth=1
	s_or_b64 exec, exec, s[20:21]
	s_waitcnt lgkmcnt(0)
	v_add_u32_e32 v4, 1, v13
	v_cmp_le_i32_e32 vcc, s11, v4
	s_or_b64 s[4:5], vcc, s[4:5]
	s_andn2_b64 exec, exec, s[4:5]
	s_cbranch_execz .LBB19_31
.LBB19_7:                               ; =>This Loop Header: Depth=1
                                        ;     Child Loop BB19_11 Depth 2
                                        ;       Child Loop BB19_13 Depth 3
                                        ;     Child Loop BB19_21 Depth 2
                                        ;       Child Loop BB19_24 Depth 3
	v_cmp_lt_i32_e32 vcc, v7, v6
	v_mov_b32_e32 v13, s11
	s_and_saveexec_b64 s[20:21], vcc
	s_cbranch_execz .LBB19_16
; %bb.8:                                ;   in Loop: Header=BB19_7 Depth=1
	s_mov_b64 s[22:23], 0
	v_mov_b32_e32 v13, s11
	v_mov_b32_e32 v2, v7
	s_branch .LBB19_11
.LBB19_9:                               ;   in Loop: Header=BB19_11 Depth=2
	s_mov_b64 s[24:25], 0
.LBB19_10:                              ;   in Loop: Header=BB19_11 Depth=2
	v_add_u32_e32 v2, 1, v2
	v_cmp_ge_i32_e32 vcc, v2, v6
	s_or_b64 s[24:25], s[24:25], vcc
	s_and_b64 s[24:25], exec, s[24:25]
	s_or_b64 s[22:23], s[24:25], s[22:23]
	s_andn2_b64 exec, exec, s[22:23]
	s_cbranch_execz .LBB19_15
.LBB19_11:                              ;   Parent Loop BB19_7 Depth=1
                                        ; =>  This Loop Header: Depth=2
                                        ;       Child Loop BB19_13 Depth 3
	s_and_b64 vcc, exec, s[2:3]
	s_cbranch_vccnz .LBB19_9
; %bb.12:                               ;   in Loop: Header=BB19_11 Depth=2
	v_ashrrev_i32_e32 v3, 31, v2
	v_lshlrev_b64 v[14:15], 2, v[2:3]
	s_waitcnt lgkmcnt(0)
	v_mov_b32_e32 v3, s19
	v_add_co_u32_e32 v14, vcc, s18, v14
	v_addc_co_u32_e32 v15, vcc, v3, v15, vcc
	global_load_dword v3, v[14:15], off
	s_mov_b32 s30, 0
	s_mov_b64 s[28:29], 0
	s_mov_b64 s[26:27], 0
                                        ; implicit-def: $sgpr24_sgpr25
	s_waitcnt vmcnt(0)
	v_subrev_u32_e32 v3, s38, v3
	v_mul_lo_u32 v3, v3, s9
.LBB19_13:                              ;   Parent Loop BB19_7 Depth=1
                                        ;     Parent Loop BB19_11 Depth=2
                                        ; =>    This Inner Loop Header: Depth=3
	v_add_u32_e32 v14, s30, v3
	v_sub_u32_e32 v16, 0, v14
	v_ashrrev_i32_e32 v15, 31, v14
	v_max_i32_e32 v14, v14, v16
	v_mul_hi_u32 v16, v14, v10
	v_xor_b32_e32 v15, s39, v15
	s_add_i32 s30, s30, 1
	v_mul_lo_u32 v17, v16, s10
	v_add_u32_e32 v18, 1, v16
	v_sub_u32_e32 v14, v14, v17
	v_cmp_le_u32_e32 vcc, s10, v14
	v_subrev_u32_e32 v17, s10, v14
	v_cndmask_b32_e32 v16, v16, v18, vcc
	v_cndmask_b32_e32 v14, v14, v17, vcc
	v_add_u32_e32 v17, 1, v16
	v_cmp_le_u32_e32 vcc, s10, v14
	v_cndmask_b32_e32 v14, v16, v17, vcc
	v_xor_b32_e32 v14, v14, v15
	v_sub_u32_e32 v14, v14, v15
	v_cmp_ge_i32_e32 vcc, v14, v4
	s_or_b64 s[28:29], vcc, s[28:29]
	s_cmp_ge_i32 s30, s9
	s_cselect_b64 s[34:35], -1, 0
	s_or_b64 s[34:35], vcc, s[34:35]
	s_and_b64 s[34:35], exec, s[34:35]
	s_or_b64 s[26:27], s[34:35], s[26:27]
	s_andn2_b64 s[24:25], s[24:25], exec
	s_and_b64 s[34:35], s[28:29], exec
	v_cndmask_b32_e32 v13, v13, v14, vcc
	v_cndmask_b32_e32 v7, v7, v2, vcc
	s_or_b64 s[24:25], s[24:25], s[34:35]
	s_andn2_b64 exec, exec, s[26:27]
	s_cbranch_execnz .LBB19_13
; %bb.14:                               ;   in Loop: Header=BB19_11 Depth=2
	s_or_b64 exec, exec, s[26:27]
	s_branch .LBB19_10
.LBB19_15:                              ;   in Loop: Header=BB19_7 Depth=1
	s_or_b64 exec, exec, s[22:23]
.LBB19_16:                              ;   in Loop: Header=BB19_7 Depth=1
	s_or_b64 exec, exec, s[20:21]
	v_mov_b32_dpp v2, v13 row_shr:1 row_mask:0xf bank_mask:0xf
	v_min_i32_e32 v2, v2, v13
	s_nop 1
	v_mov_b32_dpp v3, v2 row_shr:2 row_mask:0xf bank_mask:0xf
	v_min_i32_e32 v2, v3, v2
	v_cmp_gt_i32_e32 vcc, s11, v2
	s_and_b64 s[22:23], s[0:1], vcc
	s_and_saveexec_b64 s[20:21], s[22:23]
	s_cbranch_execz .LBB19_18
; %bb.17:                               ;   in Loop: Header=BB19_7 Depth=1
	v_add_u32_e32 v3, v12, v5
	v_ashrrev_i32_e32 v4, 31, v3
	v_lshlrev_b64 v[3:4], 2, v[3:4]
	v_add_u32_e32 v13, 1, v12
	s_waitcnt lgkmcnt(0)
	v_mov_b32_e32 v12, s7
	v_add_co_u32_e32 v3, vcc, s6, v3
	v_addc_co_u32_e32 v4, vcc, v12, v4, vcc
	v_add_u32_e32 v12, s33, v2
	global_store_dword v[3:4], v12, off
	v_mov_b32_e32 v12, v13
.LBB19_18:                              ;   in Loop: Header=BB19_7 Depth=1
	s_or_b64 exec, exec, s[20:21]
	ds_bpermute_b32 v13, v9, v2
	ds_bpermute_b32 v12, v9, v12
	v_cmp_lt_i32_e32 vcc, v7, v6
	s_and_saveexec_b64 s[20:21], vcc
	s_cbranch_execz .LBB19_6
; %bb.19:                               ;   in Loop: Header=BB19_7 Depth=1
	s_waitcnt lgkmcnt(0)
	v_add_u32_e32 v2, v8, v12
	v_mad_u64_u32 v[2:3], s[22:23], v2, s12, v[0:1]
	v_add_u32_e32 v3, v11, v7
	v_mul_lo_u32 v15, v13, s13
	v_mad_u64_u32 v[3:4], s[22:23], s8, v3, v[1:2]
	v_mul_lo_u32 v14, v2, s13
	s_mov_b64 s[22:23], 0
	v_mul_lo_u32 v16, s9, v3
	v_mov_b32_e32 v2, v7
	s_branch .LBB19_21
.LBB19_20:                              ;   in Loop: Header=BB19_21 Depth=2
	s_or_b64 exec, exec, s[28:29]
	s_and_b64 s[24:25], exec, s[24:25]
	s_or_b64 s[22:23], s[24:25], s[22:23]
	s_andn2_b64 exec, exec, s[22:23]
	s_cbranch_execz .LBB19_6
.LBB19_21:                              ;   Parent Loop BB19_7 Depth=1
                                        ; =>  This Loop Header: Depth=2
                                        ;       Child Loop BB19_24 Depth 3
	s_mov_b64 s[24:25], -1
	s_and_b64 vcc, exec, s[2:3]
	s_mov_b64 s[26:27], -1
	s_cbranch_vccnz .LBB19_29
; %bb.22:                               ;   in Loop: Header=BB19_21 Depth=2
	v_ashrrev_i32_e32 v3, 31, v2
	v_lshlrev_b64 v[3:4], 2, v[2:3]
	v_mov_b32_e32 v17, s19
	v_add_co_u32_e32 v3, vcc, s18, v3
	v_addc_co_u32_e32 v4, vcc, v17, v4, vcc
	global_load_dword v3, v[3:4], off
	s_mov_b64 s[28:29], 0
	s_mov_b32 s41, s9
                                        ; implicit-def: $sgpr26_sgpr27
	s_waitcnt vmcnt(0)
	v_subrev_u32_e32 v3, s38, v3
	v_mul_lo_u32 v17, v3, s9
	v_mov_b32_e32 v3, v16
	s_branch .LBB19_24
.LBB19_23:                              ;   in Loop: Header=BB19_24 Depth=3
	s_or_b64 exec, exec, s[36:37]
	s_xor_b64 s[34:35], s[34:35], -1
	s_and_b64 s[30:31], exec, s[30:31]
	s_or_b64 s[28:29], s[30:31], s[28:29]
	s_andn2_b64 s[26:27], s[26:27], exec
	s_and_b64 s[30:31], s[34:35], exec
	s_or_b64 s[26:27], s[26:27], s[30:31]
	s_andn2_b64 exec, exec, s[28:29]
	s_cbranch_execz .LBB19_28
.LBB19_24:                              ;   Parent Loop BB19_7 Depth=1
                                        ;     Parent Loop BB19_21 Depth=2
                                        ; =>    This Inner Loop Header: Depth=3
	v_sub_u32_e32 v4, 0, v17
	v_max_i32_e32 v4, v17, v4
	v_mul_hi_u32 v18, v4, v10
	v_ashrrev_i32_e32 v20, 31, v17
	v_xor_b32_e32 v20, s39, v20
	v_mul_lo_u32 v19, v18, s10
	v_add_u32_e32 v21, 1, v18
	v_sub_u32_e32 v4, v4, v19
	v_cmp_le_u32_e32 vcc, s10, v4
	v_subrev_u32_e32 v19, s10, v4
	v_cndmask_b32_e32 v18, v18, v21, vcc
	v_cndmask_b32_e32 v4, v4, v19, vcc
	v_add_u32_e32 v19, 1, v18
	v_cmp_le_u32_e32 vcc, s10, v4
	v_cndmask_b32_e32 v4, v18, v19, vcc
	v_xor_b32_e32 v4, v4, v20
	v_sub_u32_e32 v18, v4, v20
	v_cmp_eq_u32_e32 vcc, v18, v13
	s_and_saveexec_b64 s[30:31], vcc
	s_cbranch_execz .LBB19_26
; %bb.25:                               ;   in Loop: Header=BB19_24 Depth=3
	v_ashrrev_i32_e32 v4, 31, v3
	v_lshlrev_b64 v[19:20], 3, v[3:4]
	v_mov_b32_e32 v4, s17
	v_add_co_u32_e32 v19, vcc, s16, v19
	v_addc_co_u32_e32 v20, vcc, v4, v20, vcc
	global_load_dwordx2 v[19:20], v[19:20], off
	v_sub_u32_e32 v4, v17, v15
	v_add_u32_e32 v21, v4, v14
	v_ashrrev_i32_e32 v22, 31, v21
	v_lshlrev_b64 v[21:22], 3, v[21:22]
	v_mov_b32_e32 v4, s15
	v_add_co_u32_e32 v21, vcc, s14, v21
	v_addc_co_u32_e32 v22, vcc, v4, v22, vcc
	s_waitcnt vmcnt(0)
	global_store_dwordx2 v[21:22], v[19:20], off
.LBB19_26:                              ;   in Loop: Header=BB19_24 Depth=3
	s_or_b64 exec, exec, s[30:31]
	v_cmp_le_i32_e32 vcc, v18, v13
	s_mov_b64 s[30:31], -1
	s_mov_b64 s[34:35], -1
	s_and_saveexec_b64 s[36:37], vcc
	s_cbranch_execz .LBB19_23
; %bb.27:                               ;   in Loop: Header=BB19_24 Depth=3
	s_add_i32 s41, s41, -1
	s_cmp_eq_u32 s41, 0
	s_cselect_b64 s[30:31], -1, 0
	v_add_u32_e32 v17, 1, v17
	v_add_u32_e32 v3, 1, v3
	s_xor_b64 s[34:35], exec, -1
	s_orn2_b64 s[30:31], s[30:31], exec
	s_branch .LBB19_23
.LBB19_28:                              ;   in Loop: Header=BB19_21 Depth=2
	s_or_b64 exec, exec, s[28:29]
.LBB19_29:                              ;   in Loop: Header=BB19_21 Depth=2
	s_and_saveexec_b64 s[28:29], s[26:27]
	s_cbranch_execz .LBB19_20
; %bb.30:                               ;   in Loop: Header=BB19_21 Depth=2
	v_add_u32_e32 v2, 1, v2
	v_cmp_ge_i32_e32 vcc, v2, v6
	v_add_u32_e32 v16, s40, v16
	s_orn2_b64 s[24:25], vcc, exec
	s_branch .LBB19_20
.LBB19_31:
	s_endpgm
	.section	.rodata,"a",@progbits
	.p2align	6, 0x0
	.amdhsa_kernel _ZN9rocsparseL23gebsr2gebsr_fast_kernelIL20rocsparse_direction_0ELi16ELi4EdEEvii21rocsparse_index_base_PKT2_PKiS7_iiiiS2_PS3_PiS9_ii
		.amdhsa_group_segment_fixed_size 0
		.amdhsa_private_segment_fixed_size 0
		.amdhsa_kernarg_size 96
		.amdhsa_user_sgpr_count 6
		.amdhsa_user_sgpr_private_segment_buffer 1
		.amdhsa_user_sgpr_dispatch_ptr 0
		.amdhsa_user_sgpr_queue_ptr 0
		.amdhsa_user_sgpr_kernarg_segment_ptr 1
		.amdhsa_user_sgpr_dispatch_id 0
		.amdhsa_user_sgpr_flat_scratch_init 0
		.amdhsa_user_sgpr_private_segment_size 0
		.amdhsa_uses_dynamic_stack 0
		.amdhsa_system_sgpr_private_segment_wavefront_offset 0
		.amdhsa_system_sgpr_workgroup_id_x 1
		.amdhsa_system_sgpr_workgroup_id_y 0
		.amdhsa_system_sgpr_workgroup_id_z 0
		.amdhsa_system_sgpr_workgroup_info 0
		.amdhsa_system_vgpr_workitem_id 0
		.amdhsa_next_free_vgpr 23
		.amdhsa_next_free_sgpr 42
		.amdhsa_reserve_vcc 1
		.amdhsa_reserve_flat_scratch 0
		.amdhsa_float_round_mode_32 0
		.amdhsa_float_round_mode_16_64 0
		.amdhsa_float_denorm_mode_32 3
		.amdhsa_float_denorm_mode_16_64 3
		.amdhsa_dx10_clamp 1
		.amdhsa_ieee_mode 1
		.amdhsa_fp16_overflow 0
		.amdhsa_exception_fp_ieee_invalid_op 0
		.amdhsa_exception_fp_denorm_src 0
		.amdhsa_exception_fp_ieee_div_zero 0
		.amdhsa_exception_fp_ieee_overflow 0
		.amdhsa_exception_fp_ieee_underflow 0
		.amdhsa_exception_fp_ieee_inexact 0
		.amdhsa_exception_int_div_zero 0
	.end_amdhsa_kernel
	.section	.text._ZN9rocsparseL23gebsr2gebsr_fast_kernelIL20rocsparse_direction_0ELi16ELi4EdEEvii21rocsparse_index_base_PKT2_PKiS7_iiiiS2_PS3_PiS9_ii,"axG",@progbits,_ZN9rocsparseL23gebsr2gebsr_fast_kernelIL20rocsparse_direction_0ELi16ELi4EdEEvii21rocsparse_index_base_PKT2_PKiS7_iiiiS2_PS3_PiS9_ii,comdat
.Lfunc_end19:
	.size	_ZN9rocsparseL23gebsr2gebsr_fast_kernelIL20rocsparse_direction_0ELi16ELi4EdEEvii21rocsparse_index_base_PKT2_PKiS7_iiiiS2_PS3_PiS9_ii, .Lfunc_end19-_ZN9rocsparseL23gebsr2gebsr_fast_kernelIL20rocsparse_direction_0ELi16ELi4EdEEvii21rocsparse_index_base_PKT2_PKiS7_iiiiS2_PS3_PiS9_ii
                                        ; -- End function
	.set _ZN9rocsparseL23gebsr2gebsr_fast_kernelIL20rocsparse_direction_0ELi16ELi4EdEEvii21rocsparse_index_base_PKT2_PKiS7_iiiiS2_PS3_PiS9_ii.num_vgpr, 23
	.set _ZN9rocsparseL23gebsr2gebsr_fast_kernelIL20rocsparse_direction_0ELi16ELi4EdEEvii21rocsparse_index_base_PKT2_PKiS7_iiiiS2_PS3_PiS9_ii.num_agpr, 0
	.set _ZN9rocsparseL23gebsr2gebsr_fast_kernelIL20rocsparse_direction_0ELi16ELi4EdEEvii21rocsparse_index_base_PKT2_PKiS7_iiiiS2_PS3_PiS9_ii.numbered_sgpr, 42
	.set _ZN9rocsparseL23gebsr2gebsr_fast_kernelIL20rocsparse_direction_0ELi16ELi4EdEEvii21rocsparse_index_base_PKT2_PKiS7_iiiiS2_PS3_PiS9_ii.num_named_barrier, 0
	.set _ZN9rocsparseL23gebsr2gebsr_fast_kernelIL20rocsparse_direction_0ELi16ELi4EdEEvii21rocsparse_index_base_PKT2_PKiS7_iiiiS2_PS3_PiS9_ii.private_seg_size, 0
	.set _ZN9rocsparseL23gebsr2gebsr_fast_kernelIL20rocsparse_direction_0ELi16ELi4EdEEvii21rocsparse_index_base_PKT2_PKiS7_iiiiS2_PS3_PiS9_ii.uses_vcc, 1
	.set _ZN9rocsparseL23gebsr2gebsr_fast_kernelIL20rocsparse_direction_0ELi16ELi4EdEEvii21rocsparse_index_base_PKT2_PKiS7_iiiiS2_PS3_PiS9_ii.uses_flat_scratch, 0
	.set _ZN9rocsparseL23gebsr2gebsr_fast_kernelIL20rocsparse_direction_0ELi16ELi4EdEEvii21rocsparse_index_base_PKT2_PKiS7_iiiiS2_PS3_PiS9_ii.has_dyn_sized_stack, 0
	.set _ZN9rocsparseL23gebsr2gebsr_fast_kernelIL20rocsparse_direction_0ELi16ELi4EdEEvii21rocsparse_index_base_PKT2_PKiS7_iiiiS2_PS3_PiS9_ii.has_recursion, 0
	.set _ZN9rocsparseL23gebsr2gebsr_fast_kernelIL20rocsparse_direction_0ELi16ELi4EdEEvii21rocsparse_index_base_PKT2_PKiS7_iiiiS2_PS3_PiS9_ii.has_indirect_call, 0
	.section	.AMDGPU.csdata,"",@progbits
; Kernel info:
; codeLenInByte = 1504
; TotalNumSgprs: 46
; NumVgprs: 23
; ScratchSize: 0
; MemoryBound: 0
; FloatMode: 240
; IeeeMode: 1
; LDSByteSize: 0 bytes/workgroup (compile time only)
; SGPRBlocks: 5
; VGPRBlocks: 5
; NumSGPRsForWavesPerEU: 46
; NumVGPRsForWavesPerEU: 23
; Occupancy: 10
; WaveLimiterHint : 0
; COMPUTE_PGM_RSRC2:SCRATCH_EN: 0
; COMPUTE_PGM_RSRC2:USER_SGPR: 6
; COMPUTE_PGM_RSRC2:TRAP_HANDLER: 0
; COMPUTE_PGM_RSRC2:TGID_X_EN: 1
; COMPUTE_PGM_RSRC2:TGID_Y_EN: 0
; COMPUTE_PGM_RSRC2:TGID_Z_EN: 0
; COMPUTE_PGM_RSRC2:TIDIG_COMP_CNT: 0
	.section	.text._ZN9rocsparseL23gebsr2gebsr_fast_kernelIL20rocsparse_direction_0ELi16ELi8EdEEvii21rocsparse_index_base_PKT2_PKiS7_iiiiS2_PS3_PiS9_ii,"axG",@progbits,_ZN9rocsparseL23gebsr2gebsr_fast_kernelIL20rocsparse_direction_0ELi16ELi8EdEEvii21rocsparse_index_base_PKT2_PKiS7_iiiiS2_PS3_PiS9_ii,comdat
	.globl	_ZN9rocsparseL23gebsr2gebsr_fast_kernelIL20rocsparse_direction_0ELi16ELi8EdEEvii21rocsparse_index_base_PKT2_PKiS7_iiiiS2_PS3_PiS9_ii ; -- Begin function _ZN9rocsparseL23gebsr2gebsr_fast_kernelIL20rocsparse_direction_0ELi16ELi8EdEEvii21rocsparse_index_base_PKT2_PKiS7_iiiiS2_PS3_PiS9_ii
	.p2align	8
	.type	_ZN9rocsparseL23gebsr2gebsr_fast_kernelIL20rocsparse_direction_0ELi16ELi8EdEEvii21rocsparse_index_base_PKT2_PKiS7_iiiiS2_PS3_PiS9_ii,@function
_ZN9rocsparseL23gebsr2gebsr_fast_kernelIL20rocsparse_direction_0ELi16ELi8EdEEvii21rocsparse_index_base_PKT2_PKiS7_iiiiS2_PS3_PiS9_ii: ; @_ZN9rocsparseL23gebsr2gebsr_fast_kernelIL20rocsparse_direction_0ELi16ELi8EdEEvii21rocsparse_index_base_PKT2_PKiS7_iiiiS2_PS3_PiS9_ii
; %bb.0:
	s_load_dwordx4 s[8:11], s[4:5], 0x28
	s_load_dword s33, s[4:5], 0x38
	s_load_dwordx2 s[12:13], s[4:5], 0x58
	v_lshrrev_b32_e32 v4, 3, v0
	s_lshl_b32 s2, s6, 1
	s_waitcnt lgkmcnt(0)
	s_abs_i32 s3, s8
	v_cvt_f32_u32_e32 v1, s3
	s_sub_i32 s0, 0, s3
	v_and_b32_e32 v0, 7, v0
	s_load_dword s6, s[4:5], 0x0
	s_load_dword s38, s[4:5], 0x8
	v_rcp_iflag_f32_e32 v1, v1
	v_cmp_gt_i32_e32 vcc, s12, v0
	v_mul_f32_e32 v1, 0x4f7ffffe, v1
	v_cvt_u32_f32_e32 v5, v1
	v_or_b32_e32 v1, s2, v4
	v_mul_lo_u32 v6, s0, v5
	v_mad_u64_u32 v[2:3], s[0:1], v1, s12, v[0:1]
	v_mul_hi_u32 v3, v5, v6
	v_sub_u32_e32 v6, 0, v2
	v_max_i32_e32 v7, v2, v6
	v_xor_b32_e32 v2, s8, v2
	v_add_u32_e32 v3, v5, v3
	v_mul_hi_u32 v3, v7, v3
	v_ashrrev_i32_e32 v11, 31, v2
	v_mov_b32_e32 v5, 0
	v_mov_b32_e32 v6, 0
	v_mul_lo_u32 v8, v3, s3
	v_add_u32_e32 v2, 1, v3
	v_sub_u32_e32 v7, v7, v8
	v_cmp_le_u32_e64 s[0:1], s3, v7
	v_cndmask_b32_e64 v2, v3, v2, s[0:1]
	v_subrev_u32_e32 v3, s3, v7
	v_cndmask_b32_e64 v3, v7, v3, s[0:1]
	v_add_u32_e32 v7, 1, v2
	v_cmp_le_u32_e64 s[0:1], s3, v3
	v_cndmask_b32_e64 v2, v2, v7, s[0:1]
	v_xor_b32_e32 v12, v2, v11
	v_sub_u32_e32 v2, v12, v11
	s_waitcnt lgkmcnt(0)
	v_cmp_gt_i32_e64 s[0:1], s6, v2
	s_and_b64 s[6:7], vcc, s[0:1]
	v_mov_b32_e32 v7, 0
	s_and_saveexec_b64 s[0:1], s[6:7]
	s_cbranch_execnz .LBB20_3
; %bb.1:
	s_or_b64 exec, exec, s[0:1]
	v_cmp_gt_i32_e32 vcc, s10, v1
	s_and_saveexec_b64 s[0:1], vcc
	s_cbranch_execnz .LBB20_4
.LBB20_2:
	s_or_b64 exec, exec, s[0:1]
	s_cmp_lt_i32 s11, 1
	s_cbranch_scc0 .LBB20_5
	s_branch .LBB20_31
.LBB20_3:
	s_load_dwordx2 s[6:7], s[4:5], 0x18
	v_ashrrev_i32_e32 v3, 31, v2
	v_lshlrev_b64 v[2:3], 2, v[2:3]
	s_waitcnt lgkmcnt(0)
	v_mov_b32_e32 v6, s7
	v_add_co_u32_e32 v2, vcc, s6, v2
	v_addc_co_u32_e32 v3, vcc, v6, v3, vcc
	global_load_dwordx2 v[2:3], v[2:3], off
	s_waitcnt vmcnt(0)
	v_subrev_u32_e32 v7, s38, v2
	v_subrev_u32_e32 v6, s38, v3
	s_or_b64 exec, exec, s[0:1]
	v_cmp_gt_i32_e32 vcc, s10, v1
	s_and_saveexec_b64 s[0:1], vcc
	s_cbranch_execz .LBB20_2
.LBB20_4:
	s_load_dwordx2 s[6:7], s[4:5], 0x48
	v_ashrrev_i32_e32 v2, 31, v1
	v_lshlrev_b64 v[1:2], 2, v[1:2]
	s_waitcnt lgkmcnt(0)
	v_mov_b32_e32 v3, s7
	v_add_co_u32_e32 v1, vcc, s6, v1
	v_addc_co_u32_e32 v2, vcc, v3, v2, vcc
	global_load_dword v1, v[1:2], off
	s_waitcnt vmcnt(0)
	v_subrev_u32_e32 v5, s33, v1
	s_or_b64 exec, exec, s[0:1]
	s_cmp_lt_i32 s11, 1
	s_cbranch_scc1 .LBB20_31
.LBB20_5:
	s_cmp_gt_i32 s9, 0
	s_cselect_b64 s[20:21], -1, 0
	s_abs_i32 s10, s13
	v_cvt_f32_u32_e32 v1, s10
	s_sub_i32 s3, 0, s10
	s_load_dwordx2 s[6:7], s[4:5], 0x50
	s_load_dwordx2 s[14:15], s[4:5], 0x40
	;; [unrolled: 1-line block ×4, first 2 shown]
	v_add_u32_e32 v4, s2, v4
	v_rcp_iflag_f32_e32 v1, v1
	v_cmp_eq_u32_e64 s[0:1], 7, v0
	v_add_u32_e32 v8, -1, v5
	s_ashr_i32 s39, s13, 31
	v_mul_f32_e32 v1, 0x4f7ffffe, v1
	v_cvt_u32_f32_e32 v3, v1
	v_mbcnt_lo_u32_b32 v1, -1, 0
	v_mbcnt_hi_u32_b32 v9, -1, v1
	v_lshl_or_b32 v9, v9, 2, 28
	v_mul_lo_u32 v2, s3, v3
	v_sub_u32_e32 v11, v11, v12
	s_mul_i32 s40, s9, s8
	s_mov_b64 s[4:5], 0
	v_mul_hi_u32 v10, v3, v2
	v_mad_u64_u32 v[1:2], s[2:3], s12, v4, v[0:1]
	v_cndmask_b32_e64 v2, 0, 1, s[20:21]
	v_add_u32_e32 v10, v3, v10
	v_mov_b32_e32 v4, 0
	v_cmp_ne_u32_e64 s[2:3], 1, v2
	v_mov_b32_e32 v12, 0
	s_branch .LBB20_7
.LBB20_6:                               ;   in Loop: Header=BB20_7 Depth=1
	s_or_b64 exec, exec, s[20:21]
	s_waitcnt lgkmcnt(0)
	v_add_u32_e32 v4, 1, v13
	v_cmp_le_i32_e32 vcc, s11, v4
	s_or_b64 s[4:5], vcc, s[4:5]
	s_andn2_b64 exec, exec, s[4:5]
	s_cbranch_execz .LBB20_31
.LBB20_7:                               ; =>This Loop Header: Depth=1
                                        ;     Child Loop BB20_11 Depth 2
                                        ;       Child Loop BB20_13 Depth 3
                                        ;     Child Loop BB20_21 Depth 2
                                        ;       Child Loop BB20_24 Depth 3
	v_cmp_lt_i32_e32 vcc, v7, v6
	v_mov_b32_e32 v13, s11
	s_and_saveexec_b64 s[20:21], vcc
	s_cbranch_execz .LBB20_16
; %bb.8:                                ;   in Loop: Header=BB20_7 Depth=1
	s_mov_b64 s[22:23], 0
	v_mov_b32_e32 v13, s11
	v_mov_b32_e32 v2, v7
	s_branch .LBB20_11
.LBB20_9:                               ;   in Loop: Header=BB20_11 Depth=2
	s_mov_b64 s[24:25], 0
.LBB20_10:                              ;   in Loop: Header=BB20_11 Depth=2
	v_add_u32_e32 v2, 1, v2
	v_cmp_ge_i32_e32 vcc, v2, v6
	s_or_b64 s[24:25], s[24:25], vcc
	s_and_b64 s[24:25], exec, s[24:25]
	s_or_b64 s[22:23], s[24:25], s[22:23]
	s_andn2_b64 exec, exec, s[22:23]
	s_cbranch_execz .LBB20_15
.LBB20_11:                              ;   Parent Loop BB20_7 Depth=1
                                        ; =>  This Loop Header: Depth=2
                                        ;       Child Loop BB20_13 Depth 3
	s_and_b64 vcc, exec, s[2:3]
	s_cbranch_vccnz .LBB20_9
; %bb.12:                               ;   in Loop: Header=BB20_11 Depth=2
	v_ashrrev_i32_e32 v3, 31, v2
	v_lshlrev_b64 v[14:15], 2, v[2:3]
	s_waitcnt lgkmcnt(0)
	v_mov_b32_e32 v3, s19
	v_add_co_u32_e32 v14, vcc, s18, v14
	v_addc_co_u32_e32 v15, vcc, v3, v15, vcc
	global_load_dword v3, v[14:15], off
	s_mov_b32 s30, 0
	s_mov_b64 s[28:29], 0
	s_mov_b64 s[26:27], 0
                                        ; implicit-def: $sgpr24_sgpr25
	s_waitcnt vmcnt(0)
	v_subrev_u32_e32 v3, s38, v3
	v_mul_lo_u32 v3, v3, s9
.LBB20_13:                              ;   Parent Loop BB20_7 Depth=1
                                        ;     Parent Loop BB20_11 Depth=2
                                        ; =>    This Inner Loop Header: Depth=3
	v_add_u32_e32 v14, s30, v3
	v_sub_u32_e32 v16, 0, v14
	v_ashrrev_i32_e32 v15, 31, v14
	v_max_i32_e32 v14, v14, v16
	v_mul_hi_u32 v16, v14, v10
	v_xor_b32_e32 v15, s39, v15
	s_add_i32 s30, s30, 1
	v_mul_lo_u32 v17, v16, s10
	v_add_u32_e32 v18, 1, v16
	v_sub_u32_e32 v14, v14, v17
	v_cmp_le_u32_e32 vcc, s10, v14
	v_subrev_u32_e32 v17, s10, v14
	v_cndmask_b32_e32 v16, v16, v18, vcc
	v_cndmask_b32_e32 v14, v14, v17, vcc
	v_add_u32_e32 v17, 1, v16
	v_cmp_le_u32_e32 vcc, s10, v14
	v_cndmask_b32_e32 v14, v16, v17, vcc
	v_xor_b32_e32 v14, v14, v15
	v_sub_u32_e32 v14, v14, v15
	v_cmp_ge_i32_e32 vcc, v14, v4
	s_or_b64 s[28:29], vcc, s[28:29]
	s_cmp_ge_i32 s30, s9
	s_cselect_b64 s[34:35], -1, 0
	s_or_b64 s[34:35], vcc, s[34:35]
	s_and_b64 s[34:35], exec, s[34:35]
	s_or_b64 s[26:27], s[34:35], s[26:27]
	s_andn2_b64 s[24:25], s[24:25], exec
	s_and_b64 s[34:35], s[28:29], exec
	v_cndmask_b32_e32 v13, v13, v14, vcc
	v_cndmask_b32_e32 v7, v7, v2, vcc
	s_or_b64 s[24:25], s[24:25], s[34:35]
	s_andn2_b64 exec, exec, s[26:27]
	s_cbranch_execnz .LBB20_13
; %bb.14:                               ;   in Loop: Header=BB20_11 Depth=2
	s_or_b64 exec, exec, s[26:27]
	s_branch .LBB20_10
.LBB20_15:                              ;   in Loop: Header=BB20_7 Depth=1
	s_or_b64 exec, exec, s[22:23]
.LBB20_16:                              ;   in Loop: Header=BB20_7 Depth=1
	s_or_b64 exec, exec, s[20:21]
	v_mov_b32_dpp v2, v13 row_shr:1 row_mask:0xf bank_mask:0xf
	v_min_i32_e32 v2, v2, v13
	s_nop 1
	v_mov_b32_dpp v3, v2 row_shr:2 row_mask:0xf bank_mask:0xf
	v_min_i32_e32 v2, v3, v2
	s_nop 1
	v_mov_b32_dpp v3, v2 row_shr:4 row_mask:0xf bank_mask:0xe
	v_min_i32_e32 v2, v3, v2
	v_cmp_gt_i32_e32 vcc, s11, v2
	s_and_b64 s[22:23], s[0:1], vcc
	s_and_saveexec_b64 s[20:21], s[22:23]
	s_cbranch_execz .LBB20_18
; %bb.17:                               ;   in Loop: Header=BB20_7 Depth=1
	v_add_u32_e32 v3, v12, v5
	v_ashrrev_i32_e32 v4, 31, v3
	v_lshlrev_b64 v[3:4], 2, v[3:4]
	v_add_u32_e32 v13, 1, v12
	s_waitcnt lgkmcnt(0)
	v_mov_b32_e32 v12, s7
	v_add_co_u32_e32 v3, vcc, s6, v3
	v_addc_co_u32_e32 v4, vcc, v12, v4, vcc
	v_add_u32_e32 v12, s33, v2
	global_store_dword v[3:4], v12, off
	v_mov_b32_e32 v12, v13
.LBB20_18:                              ;   in Loop: Header=BB20_7 Depth=1
	s_or_b64 exec, exec, s[20:21]
	ds_bpermute_b32 v13, v9, v2
	ds_bpermute_b32 v12, v9, v12
	v_cmp_lt_i32_e32 vcc, v7, v6
	s_and_saveexec_b64 s[20:21], vcc
	s_cbranch_execz .LBB20_6
; %bb.19:                               ;   in Loop: Header=BB20_7 Depth=1
	s_waitcnt lgkmcnt(0)
	v_add_u32_e32 v2, v8, v12
	v_mad_u64_u32 v[2:3], s[22:23], v2, s12, v[0:1]
	v_add_u32_e32 v3, v11, v7
	v_mul_lo_u32 v15, v13, s13
	v_mad_u64_u32 v[3:4], s[22:23], s8, v3, v[1:2]
	v_mul_lo_u32 v14, v2, s13
	s_mov_b64 s[22:23], 0
	v_mul_lo_u32 v16, s9, v3
	v_mov_b32_e32 v2, v7
	s_branch .LBB20_21
.LBB20_20:                              ;   in Loop: Header=BB20_21 Depth=2
	s_or_b64 exec, exec, s[28:29]
	s_and_b64 s[24:25], exec, s[24:25]
	s_or_b64 s[22:23], s[24:25], s[22:23]
	s_andn2_b64 exec, exec, s[22:23]
	s_cbranch_execz .LBB20_6
.LBB20_21:                              ;   Parent Loop BB20_7 Depth=1
                                        ; =>  This Loop Header: Depth=2
                                        ;       Child Loop BB20_24 Depth 3
	s_mov_b64 s[24:25], -1
	s_and_b64 vcc, exec, s[2:3]
	s_mov_b64 s[26:27], -1
	s_cbranch_vccnz .LBB20_29
; %bb.22:                               ;   in Loop: Header=BB20_21 Depth=2
	v_ashrrev_i32_e32 v3, 31, v2
	v_lshlrev_b64 v[3:4], 2, v[2:3]
	v_mov_b32_e32 v17, s19
	v_add_co_u32_e32 v3, vcc, s18, v3
	v_addc_co_u32_e32 v4, vcc, v17, v4, vcc
	global_load_dword v3, v[3:4], off
	s_mov_b64 s[28:29], 0
	s_mov_b32 s41, s9
                                        ; implicit-def: $sgpr26_sgpr27
	s_waitcnt vmcnt(0)
	v_subrev_u32_e32 v3, s38, v3
	v_mul_lo_u32 v17, v3, s9
	v_mov_b32_e32 v3, v16
	s_branch .LBB20_24
.LBB20_23:                              ;   in Loop: Header=BB20_24 Depth=3
	s_or_b64 exec, exec, s[36:37]
	s_xor_b64 s[34:35], s[34:35], -1
	s_and_b64 s[30:31], exec, s[30:31]
	s_or_b64 s[28:29], s[30:31], s[28:29]
	s_andn2_b64 s[26:27], s[26:27], exec
	s_and_b64 s[30:31], s[34:35], exec
	s_or_b64 s[26:27], s[26:27], s[30:31]
	s_andn2_b64 exec, exec, s[28:29]
	s_cbranch_execz .LBB20_28
.LBB20_24:                              ;   Parent Loop BB20_7 Depth=1
                                        ;     Parent Loop BB20_21 Depth=2
                                        ; =>    This Inner Loop Header: Depth=3
	v_sub_u32_e32 v4, 0, v17
	v_max_i32_e32 v4, v17, v4
	v_mul_hi_u32 v18, v4, v10
	v_ashrrev_i32_e32 v20, 31, v17
	v_xor_b32_e32 v20, s39, v20
	v_mul_lo_u32 v19, v18, s10
	v_add_u32_e32 v21, 1, v18
	v_sub_u32_e32 v4, v4, v19
	v_cmp_le_u32_e32 vcc, s10, v4
	v_subrev_u32_e32 v19, s10, v4
	v_cndmask_b32_e32 v18, v18, v21, vcc
	v_cndmask_b32_e32 v4, v4, v19, vcc
	v_add_u32_e32 v19, 1, v18
	v_cmp_le_u32_e32 vcc, s10, v4
	v_cndmask_b32_e32 v4, v18, v19, vcc
	v_xor_b32_e32 v4, v4, v20
	v_sub_u32_e32 v18, v4, v20
	v_cmp_eq_u32_e32 vcc, v18, v13
	s_and_saveexec_b64 s[30:31], vcc
	s_cbranch_execz .LBB20_26
; %bb.25:                               ;   in Loop: Header=BB20_24 Depth=3
	v_ashrrev_i32_e32 v4, 31, v3
	v_lshlrev_b64 v[19:20], 3, v[3:4]
	v_mov_b32_e32 v4, s17
	v_add_co_u32_e32 v19, vcc, s16, v19
	v_addc_co_u32_e32 v20, vcc, v4, v20, vcc
	global_load_dwordx2 v[19:20], v[19:20], off
	v_sub_u32_e32 v4, v17, v15
	v_add_u32_e32 v21, v4, v14
	v_ashrrev_i32_e32 v22, 31, v21
	v_lshlrev_b64 v[21:22], 3, v[21:22]
	v_mov_b32_e32 v4, s15
	v_add_co_u32_e32 v21, vcc, s14, v21
	v_addc_co_u32_e32 v22, vcc, v4, v22, vcc
	s_waitcnt vmcnt(0)
	global_store_dwordx2 v[21:22], v[19:20], off
.LBB20_26:                              ;   in Loop: Header=BB20_24 Depth=3
	s_or_b64 exec, exec, s[30:31]
	v_cmp_le_i32_e32 vcc, v18, v13
	s_mov_b64 s[30:31], -1
	s_mov_b64 s[34:35], -1
	s_and_saveexec_b64 s[36:37], vcc
	s_cbranch_execz .LBB20_23
; %bb.27:                               ;   in Loop: Header=BB20_24 Depth=3
	s_add_i32 s41, s41, -1
	s_cmp_eq_u32 s41, 0
	s_cselect_b64 s[30:31], -1, 0
	v_add_u32_e32 v17, 1, v17
	v_add_u32_e32 v3, 1, v3
	s_xor_b64 s[34:35], exec, -1
	s_orn2_b64 s[30:31], s[30:31], exec
	s_branch .LBB20_23
.LBB20_28:                              ;   in Loop: Header=BB20_21 Depth=2
	s_or_b64 exec, exec, s[28:29]
.LBB20_29:                              ;   in Loop: Header=BB20_21 Depth=2
	s_and_saveexec_b64 s[28:29], s[26:27]
	s_cbranch_execz .LBB20_20
; %bb.30:                               ;   in Loop: Header=BB20_21 Depth=2
	v_add_u32_e32 v2, 1, v2
	v_cmp_ge_i32_e32 vcc, v2, v6
	v_add_u32_e32 v16, s40, v16
	s_orn2_b64 s[24:25], vcc, exec
	s_branch .LBB20_20
.LBB20_31:
	s_endpgm
	.section	.rodata,"a",@progbits
	.p2align	6, 0x0
	.amdhsa_kernel _ZN9rocsparseL23gebsr2gebsr_fast_kernelIL20rocsparse_direction_0ELi16ELi8EdEEvii21rocsparse_index_base_PKT2_PKiS7_iiiiS2_PS3_PiS9_ii
		.amdhsa_group_segment_fixed_size 0
		.amdhsa_private_segment_fixed_size 0
		.amdhsa_kernarg_size 96
		.amdhsa_user_sgpr_count 6
		.amdhsa_user_sgpr_private_segment_buffer 1
		.amdhsa_user_sgpr_dispatch_ptr 0
		.amdhsa_user_sgpr_queue_ptr 0
		.amdhsa_user_sgpr_kernarg_segment_ptr 1
		.amdhsa_user_sgpr_dispatch_id 0
		.amdhsa_user_sgpr_flat_scratch_init 0
		.amdhsa_user_sgpr_private_segment_size 0
		.amdhsa_uses_dynamic_stack 0
		.amdhsa_system_sgpr_private_segment_wavefront_offset 0
		.amdhsa_system_sgpr_workgroup_id_x 1
		.amdhsa_system_sgpr_workgroup_id_y 0
		.amdhsa_system_sgpr_workgroup_id_z 0
		.amdhsa_system_sgpr_workgroup_info 0
		.amdhsa_system_vgpr_workitem_id 0
		.amdhsa_next_free_vgpr 23
		.amdhsa_next_free_sgpr 42
		.amdhsa_reserve_vcc 1
		.amdhsa_reserve_flat_scratch 0
		.amdhsa_float_round_mode_32 0
		.amdhsa_float_round_mode_16_64 0
		.amdhsa_float_denorm_mode_32 3
		.amdhsa_float_denorm_mode_16_64 3
		.amdhsa_dx10_clamp 1
		.amdhsa_ieee_mode 1
		.amdhsa_fp16_overflow 0
		.amdhsa_exception_fp_ieee_invalid_op 0
		.amdhsa_exception_fp_denorm_src 0
		.amdhsa_exception_fp_ieee_div_zero 0
		.amdhsa_exception_fp_ieee_overflow 0
		.amdhsa_exception_fp_ieee_underflow 0
		.amdhsa_exception_fp_ieee_inexact 0
		.amdhsa_exception_int_div_zero 0
	.end_amdhsa_kernel
	.section	.text._ZN9rocsparseL23gebsr2gebsr_fast_kernelIL20rocsparse_direction_0ELi16ELi8EdEEvii21rocsparse_index_base_PKT2_PKiS7_iiiiS2_PS3_PiS9_ii,"axG",@progbits,_ZN9rocsparseL23gebsr2gebsr_fast_kernelIL20rocsparse_direction_0ELi16ELi8EdEEvii21rocsparse_index_base_PKT2_PKiS7_iiiiS2_PS3_PiS9_ii,comdat
.Lfunc_end20:
	.size	_ZN9rocsparseL23gebsr2gebsr_fast_kernelIL20rocsparse_direction_0ELi16ELi8EdEEvii21rocsparse_index_base_PKT2_PKiS7_iiiiS2_PS3_PiS9_ii, .Lfunc_end20-_ZN9rocsparseL23gebsr2gebsr_fast_kernelIL20rocsparse_direction_0ELi16ELi8EdEEvii21rocsparse_index_base_PKT2_PKiS7_iiiiS2_PS3_PiS9_ii
                                        ; -- End function
	.set _ZN9rocsparseL23gebsr2gebsr_fast_kernelIL20rocsparse_direction_0ELi16ELi8EdEEvii21rocsparse_index_base_PKT2_PKiS7_iiiiS2_PS3_PiS9_ii.num_vgpr, 23
	.set _ZN9rocsparseL23gebsr2gebsr_fast_kernelIL20rocsparse_direction_0ELi16ELi8EdEEvii21rocsparse_index_base_PKT2_PKiS7_iiiiS2_PS3_PiS9_ii.num_agpr, 0
	.set _ZN9rocsparseL23gebsr2gebsr_fast_kernelIL20rocsparse_direction_0ELi16ELi8EdEEvii21rocsparse_index_base_PKT2_PKiS7_iiiiS2_PS3_PiS9_ii.numbered_sgpr, 42
	.set _ZN9rocsparseL23gebsr2gebsr_fast_kernelIL20rocsparse_direction_0ELi16ELi8EdEEvii21rocsparse_index_base_PKT2_PKiS7_iiiiS2_PS3_PiS9_ii.num_named_barrier, 0
	.set _ZN9rocsparseL23gebsr2gebsr_fast_kernelIL20rocsparse_direction_0ELi16ELi8EdEEvii21rocsparse_index_base_PKT2_PKiS7_iiiiS2_PS3_PiS9_ii.private_seg_size, 0
	.set _ZN9rocsparseL23gebsr2gebsr_fast_kernelIL20rocsparse_direction_0ELi16ELi8EdEEvii21rocsparse_index_base_PKT2_PKiS7_iiiiS2_PS3_PiS9_ii.uses_vcc, 1
	.set _ZN9rocsparseL23gebsr2gebsr_fast_kernelIL20rocsparse_direction_0ELi16ELi8EdEEvii21rocsparse_index_base_PKT2_PKiS7_iiiiS2_PS3_PiS9_ii.uses_flat_scratch, 0
	.set _ZN9rocsparseL23gebsr2gebsr_fast_kernelIL20rocsparse_direction_0ELi16ELi8EdEEvii21rocsparse_index_base_PKT2_PKiS7_iiiiS2_PS3_PiS9_ii.has_dyn_sized_stack, 0
	.set _ZN9rocsparseL23gebsr2gebsr_fast_kernelIL20rocsparse_direction_0ELi16ELi8EdEEvii21rocsparse_index_base_PKT2_PKiS7_iiiiS2_PS3_PiS9_ii.has_recursion, 0
	.set _ZN9rocsparseL23gebsr2gebsr_fast_kernelIL20rocsparse_direction_0ELi16ELi8EdEEvii21rocsparse_index_base_PKT2_PKiS7_iiiiS2_PS3_PiS9_ii.has_indirect_call, 0
	.section	.AMDGPU.csdata,"",@progbits
; Kernel info:
; codeLenInByte = 1520
; TotalNumSgprs: 46
; NumVgprs: 23
; ScratchSize: 0
; MemoryBound: 0
; FloatMode: 240
; IeeeMode: 1
; LDSByteSize: 0 bytes/workgroup (compile time only)
; SGPRBlocks: 5
; VGPRBlocks: 5
; NumSGPRsForWavesPerEU: 46
; NumVGPRsForWavesPerEU: 23
; Occupancy: 10
; WaveLimiterHint : 0
; COMPUTE_PGM_RSRC2:SCRATCH_EN: 0
; COMPUTE_PGM_RSRC2:USER_SGPR: 6
; COMPUTE_PGM_RSRC2:TRAP_HANDLER: 0
; COMPUTE_PGM_RSRC2:TGID_X_EN: 1
; COMPUTE_PGM_RSRC2:TGID_Y_EN: 0
; COMPUTE_PGM_RSRC2:TGID_Z_EN: 0
; COMPUTE_PGM_RSRC2:TIDIG_COMP_CNT: 0
	.section	.text._ZN9rocsparseL23gebsr2gebsr_fast_kernelIL20rocsparse_direction_0ELi16ELi16EdEEvii21rocsparse_index_base_PKT2_PKiS7_iiiiS2_PS3_PiS9_ii,"axG",@progbits,_ZN9rocsparseL23gebsr2gebsr_fast_kernelIL20rocsparse_direction_0ELi16ELi16EdEEvii21rocsparse_index_base_PKT2_PKiS7_iiiiS2_PS3_PiS9_ii,comdat
	.globl	_ZN9rocsparseL23gebsr2gebsr_fast_kernelIL20rocsparse_direction_0ELi16ELi16EdEEvii21rocsparse_index_base_PKT2_PKiS7_iiiiS2_PS3_PiS9_ii ; -- Begin function _ZN9rocsparseL23gebsr2gebsr_fast_kernelIL20rocsparse_direction_0ELi16ELi16EdEEvii21rocsparse_index_base_PKT2_PKiS7_iiiiS2_PS3_PiS9_ii
	.p2align	8
	.type	_ZN9rocsparseL23gebsr2gebsr_fast_kernelIL20rocsparse_direction_0ELi16ELi16EdEEvii21rocsparse_index_base_PKT2_PKiS7_iiiiS2_PS3_PiS9_ii,@function
_ZN9rocsparseL23gebsr2gebsr_fast_kernelIL20rocsparse_direction_0ELi16ELi16EdEEvii21rocsparse_index_base_PKT2_PKiS7_iiiiS2_PS3_PiS9_ii: ; @_ZN9rocsparseL23gebsr2gebsr_fast_kernelIL20rocsparse_direction_0ELi16ELi16EdEEvii21rocsparse_index_base_PKT2_PKiS7_iiiiS2_PS3_PiS9_ii
; %bb.0:
	s_load_dwordx4 s[8:11], s[4:5], 0x28
	s_load_dword s33, s[4:5], 0x38
	s_load_dwordx2 s[12:13], s[4:5], 0x58
	s_load_dword s3, s[4:5], 0x0
	s_load_dword s38, s[4:5], 0x8
	s_mov_b32 s39, 0
	s_waitcnt lgkmcnt(0)
	s_abs_i32 s2, s8
	v_cvt_f32_u32_e32 v1, s2
	s_sub_i32 s0, 0, s2
	v_cmp_gt_i32_e32 vcc, s12, v0
	v_mov_b32_e32 v5, 0
	v_rcp_iflag_f32_e32 v1, v1
	v_mul_f32_e32 v1, 0x4f7ffffe, v1
	v_cvt_u32_f32_e32 v2, v1
	v_mul_lo_u32 v1, s0, v2
	s_mul_i32 s0, s12, s6
	v_mul_hi_u32 v3, v2, v1
	v_add_u32_e32 v1, s0, v0
	v_sub_u32_e32 v4, 0, v1
	v_max_i32_e32 v6, v1, v4
	v_add_u32_e32 v2, v2, v3
	v_mul_hi_u32 v2, v6, v2
	v_xor_b32_e32 v4, s8, v1
	v_ashrrev_i32_e32 v4, 31, v4
	v_mul_lo_u32 v3, v2, s2
	v_add_u32_e32 v7, 1, v2
	v_sub_u32_e32 v3, v6, v3
	v_cmp_le_u32_e64 s[0:1], s2, v3
	v_subrev_u32_e32 v6, s2, v3
	v_cndmask_b32_e64 v2, v2, v7, s[0:1]
	v_cndmask_b32_e64 v3, v3, v6, s[0:1]
	v_add_u32_e32 v6, 1, v2
	v_cmp_le_u32_e64 s[0:1], s2, v3
	v_cndmask_b32_e64 v2, v2, v6, s[0:1]
	v_xor_b32_e32 v7, v2, v4
	v_sub_u32_e32 v2, v7, v4
	v_cmp_gt_i32_e64 s[0:1], s3, v2
	s_and_b64 s[2:3], vcc, s[0:1]
	v_mov_b32_e32 v6, 0
	s_and_saveexec_b64 s[0:1], s[2:3]
	s_cbranch_execnz .LBB21_3
; %bb.1:
	s_or_b64 exec, exec, s[0:1]
	s_cmp_ge_i32 s6, s10
	s_cbranch_scc0 .LBB21_4
.LBB21_2:
	s_cmp_lt_i32 s11, 1
	s_cbranch_scc0 .LBB21_5
	s_branch .LBB21_31
.LBB21_3:
	s_load_dwordx2 s[2:3], s[4:5], 0x18
	v_ashrrev_i32_e32 v3, 31, v2
	v_lshlrev_b64 v[2:3], 2, v[2:3]
	s_waitcnt lgkmcnt(0)
	v_mov_b32_e32 v5, s3
	v_add_co_u32_e32 v2, vcc, s2, v2
	v_addc_co_u32_e32 v3, vcc, v5, v3, vcc
	global_load_dwordx2 v[2:3], v[2:3], off
	s_waitcnt vmcnt(0)
	v_subrev_u32_e32 v6, s38, v2
	v_subrev_u32_e32 v5, s38, v3
	s_or_b64 exec, exec, s[0:1]
	s_cmp_ge_i32 s6, s10
	s_cbranch_scc1 .LBB21_2
.LBB21_4:
	s_load_dwordx2 s[0:1], s[4:5], 0x48
	s_ashr_i32 s7, s6, 31
	s_lshl_b64 s[2:3], s[6:7], 2
	s_waitcnt lgkmcnt(0)
	s_add_u32 s0, s0, s2
	s_addc_u32 s1, s1, s3
	s_load_dword s0, s[0:1], 0x0
	s_waitcnt lgkmcnt(0)
	s_sub_i32 s39, s0, s33
	s_cmp_lt_i32 s11, 1
	s_cbranch_scc1 .LBB21_31
.LBB21_5:
	s_cmp_gt_i32 s9, 0
	s_cselect_b64 s[2:3], -1, 0
	s_abs_i32 s10, s13
	v_cvt_f32_u32_e32 v2, s10
	s_load_dwordx2 s[6:7], s[4:5], 0x50
	s_load_dwordx2 s[14:15], s[4:5], 0x40
	;; [unrolled: 1-line block ×4, first 2 shown]
	s_sub_i32 s4, 0, s10
	v_mbcnt_lo_u32_b32 v3, -1, 0
	v_rcp_iflag_f32_e32 v2, v2
	v_mbcnt_hi_u32_b32 v3, -1, v3
	v_cmp_eq_u32_e64 s[0:1], 15, v0
	v_sub_u32_e32 v7, v4, v7
	v_mul_f32_e32 v2, 0x4f7ffffe, v2
	v_cvt_u32_f32_e32 v2, v2
	s_mul_i32 s40, s9, s8
	v_mov_b32_e32 v4, 0
	s_add_i32 s41, s39, -1
	v_mul_lo_u32 v8, s4, v2
	s_ashr_i32 s42, s13, 31
	s_mov_b64 s[4:5], 0
	v_mov_b32_e32 v10, 0
	v_mul_hi_u32 v9, v2, v8
	v_lshl_or_b32 v8, v3, 2, 60
	v_add_u32_e32 v9, v2, v9
	v_cndmask_b32_e64 v2, 0, 1, s[2:3]
	v_cmp_ne_u32_e64 s[2:3], 1, v2
	s_branch .LBB21_7
.LBB21_6:                               ;   in Loop: Header=BB21_7 Depth=1
	s_or_b64 exec, exec, s[20:21]
	s_waitcnt lgkmcnt(0)
	v_add_u32_e32 v4, 1, v11
	v_cmp_le_i32_e32 vcc, s11, v4
	s_or_b64 s[4:5], vcc, s[4:5]
	s_andn2_b64 exec, exec, s[4:5]
	s_cbranch_execz .LBB21_31
.LBB21_7:                               ; =>This Loop Header: Depth=1
                                        ;     Child Loop BB21_11 Depth 2
                                        ;       Child Loop BB21_13 Depth 3
                                        ;     Child Loop BB21_21 Depth 2
                                        ;       Child Loop BB21_24 Depth 3
	v_cmp_lt_i32_e32 vcc, v6, v5
	v_mov_b32_e32 v11, s11
	s_and_saveexec_b64 s[20:21], vcc
	s_cbranch_execz .LBB21_16
; %bb.8:                                ;   in Loop: Header=BB21_7 Depth=1
	s_mov_b64 s[22:23], 0
	v_mov_b32_e32 v11, s11
	v_mov_b32_e32 v2, v6
	s_branch .LBB21_11
.LBB21_9:                               ;   in Loop: Header=BB21_11 Depth=2
	s_mov_b64 s[24:25], 0
.LBB21_10:                              ;   in Loop: Header=BB21_11 Depth=2
	v_add_u32_e32 v2, 1, v2
	v_cmp_ge_i32_e32 vcc, v2, v5
	s_or_b64 s[24:25], s[24:25], vcc
	s_and_b64 s[24:25], exec, s[24:25]
	s_or_b64 s[22:23], s[24:25], s[22:23]
	s_andn2_b64 exec, exec, s[22:23]
	s_cbranch_execz .LBB21_15
.LBB21_11:                              ;   Parent Loop BB21_7 Depth=1
                                        ; =>  This Loop Header: Depth=2
                                        ;       Child Loop BB21_13 Depth 3
	s_and_b64 vcc, exec, s[2:3]
	s_cbranch_vccnz .LBB21_9
; %bb.12:                               ;   in Loop: Header=BB21_11 Depth=2
	v_ashrrev_i32_e32 v3, 31, v2
	v_lshlrev_b64 v[12:13], 2, v[2:3]
	s_waitcnt lgkmcnt(0)
	v_mov_b32_e32 v3, s19
	v_add_co_u32_e32 v12, vcc, s18, v12
	v_addc_co_u32_e32 v13, vcc, v3, v13, vcc
	global_load_dword v3, v[12:13], off
	s_mov_b32 s30, 0
	s_mov_b64 s[28:29], 0
	s_mov_b64 s[26:27], 0
                                        ; implicit-def: $sgpr24_sgpr25
	s_waitcnt vmcnt(0)
	v_subrev_u32_e32 v3, s38, v3
	v_mul_lo_u32 v3, v3, s9
.LBB21_13:                              ;   Parent Loop BB21_7 Depth=1
                                        ;     Parent Loop BB21_11 Depth=2
                                        ; =>    This Inner Loop Header: Depth=3
	v_add_u32_e32 v12, s30, v3
	v_sub_u32_e32 v14, 0, v12
	v_ashrrev_i32_e32 v13, 31, v12
	v_max_i32_e32 v12, v12, v14
	v_mul_hi_u32 v14, v12, v9
	v_xor_b32_e32 v13, s42, v13
	s_add_i32 s30, s30, 1
	v_mul_lo_u32 v15, v14, s10
	v_add_u32_e32 v16, 1, v14
	v_sub_u32_e32 v12, v12, v15
	v_cmp_le_u32_e32 vcc, s10, v12
	v_subrev_u32_e32 v15, s10, v12
	v_cndmask_b32_e32 v14, v14, v16, vcc
	v_cndmask_b32_e32 v12, v12, v15, vcc
	v_add_u32_e32 v15, 1, v14
	v_cmp_le_u32_e32 vcc, s10, v12
	v_cndmask_b32_e32 v12, v14, v15, vcc
	v_xor_b32_e32 v12, v12, v13
	v_sub_u32_e32 v12, v12, v13
	v_cmp_ge_i32_e32 vcc, v12, v4
	s_or_b64 s[28:29], vcc, s[28:29]
	s_cmp_ge_i32 s30, s9
	s_cselect_b64 s[34:35], -1, 0
	s_or_b64 s[34:35], vcc, s[34:35]
	s_and_b64 s[34:35], exec, s[34:35]
	s_or_b64 s[26:27], s[34:35], s[26:27]
	s_andn2_b64 s[24:25], s[24:25], exec
	s_and_b64 s[34:35], s[28:29], exec
	v_cndmask_b32_e32 v11, v11, v12, vcc
	v_cndmask_b32_e32 v6, v6, v2, vcc
	s_or_b64 s[24:25], s[24:25], s[34:35]
	s_andn2_b64 exec, exec, s[26:27]
	s_cbranch_execnz .LBB21_13
; %bb.14:                               ;   in Loop: Header=BB21_11 Depth=2
	s_or_b64 exec, exec, s[26:27]
	s_branch .LBB21_10
.LBB21_15:                              ;   in Loop: Header=BB21_7 Depth=1
	s_or_b64 exec, exec, s[22:23]
.LBB21_16:                              ;   in Loop: Header=BB21_7 Depth=1
	s_or_b64 exec, exec, s[20:21]
	v_mov_b32_dpp v2, v11 row_shr:1 row_mask:0xf bank_mask:0xf
	v_min_i32_e32 v2, v2, v11
	s_nop 1
	v_mov_b32_dpp v3, v2 row_shr:2 row_mask:0xf bank_mask:0xf
	v_min_i32_e32 v2, v3, v2
	s_nop 1
	;; [unrolled: 3-line block ×3, first 2 shown]
	v_mov_b32_dpp v3, v2 row_shr:8 row_mask:0xf bank_mask:0xc
	v_min_i32_e32 v2, v3, v2
	v_cmp_gt_i32_e32 vcc, s11, v2
	s_and_b64 s[22:23], s[0:1], vcc
	s_and_saveexec_b64 s[20:21], s[22:23]
	s_cbranch_execz .LBB21_18
; %bb.17:                               ;   in Loop: Header=BB21_7 Depth=1
	v_add_u32_e32 v3, s39, v10
	v_ashrrev_i32_e32 v4, 31, v3
	v_lshlrev_b64 v[3:4], 2, v[3:4]
	v_add_u32_e32 v11, 1, v10
	s_waitcnt lgkmcnt(0)
	v_mov_b32_e32 v10, s7
	v_add_co_u32_e32 v3, vcc, s6, v3
	v_addc_co_u32_e32 v4, vcc, v10, v4, vcc
	v_add_u32_e32 v10, s33, v2
	global_store_dword v[3:4], v10, off
	v_mov_b32_e32 v10, v11
.LBB21_18:                              ;   in Loop: Header=BB21_7 Depth=1
	s_or_b64 exec, exec, s[20:21]
	ds_bpermute_b32 v11, v8, v2
	ds_bpermute_b32 v10, v8, v10
	v_cmp_lt_i32_e32 vcc, v6, v5
	s_and_saveexec_b64 s[20:21], vcc
	s_cbranch_execz .LBB21_6
; %bb.19:                               ;   in Loop: Header=BB21_7 Depth=1
	s_waitcnt lgkmcnt(0)
	v_add_u32_e32 v2, s41, v10
	v_mad_u64_u32 v[2:3], s[22:23], v2, s12, v[0:1]
	v_add_u32_e32 v3, v7, v6
	v_mul_lo_u32 v13, v11, s13
	v_mad_u64_u32 v[3:4], s[22:23], s8, v3, v[1:2]
	v_mul_lo_u32 v12, v2, s13
	s_mov_b64 s[22:23], 0
	v_mul_lo_u32 v14, s9, v3
	v_mov_b32_e32 v2, v6
	s_branch .LBB21_21
.LBB21_20:                              ;   in Loop: Header=BB21_21 Depth=2
	s_or_b64 exec, exec, s[28:29]
	s_and_b64 s[24:25], exec, s[24:25]
	s_or_b64 s[22:23], s[24:25], s[22:23]
	s_andn2_b64 exec, exec, s[22:23]
	s_cbranch_execz .LBB21_6
.LBB21_21:                              ;   Parent Loop BB21_7 Depth=1
                                        ; =>  This Loop Header: Depth=2
                                        ;       Child Loop BB21_24 Depth 3
	s_mov_b64 s[24:25], -1
	s_and_b64 vcc, exec, s[2:3]
	s_mov_b64 s[26:27], -1
	s_cbranch_vccnz .LBB21_29
; %bb.22:                               ;   in Loop: Header=BB21_21 Depth=2
	v_ashrrev_i32_e32 v3, 31, v2
	v_lshlrev_b64 v[3:4], 2, v[2:3]
	v_mov_b32_e32 v15, s19
	v_add_co_u32_e32 v3, vcc, s18, v3
	v_addc_co_u32_e32 v4, vcc, v15, v4, vcc
	global_load_dword v3, v[3:4], off
	s_mov_b64 s[28:29], 0
	s_mov_b32 s43, s9
                                        ; implicit-def: $sgpr26_sgpr27
	s_waitcnt vmcnt(0)
	v_subrev_u32_e32 v3, s38, v3
	v_mul_lo_u32 v15, v3, s9
	v_mov_b32_e32 v3, v14
	s_branch .LBB21_24
.LBB21_23:                              ;   in Loop: Header=BB21_24 Depth=3
	s_or_b64 exec, exec, s[36:37]
	s_xor_b64 s[34:35], s[34:35], -1
	s_and_b64 s[30:31], exec, s[30:31]
	s_or_b64 s[28:29], s[30:31], s[28:29]
	s_andn2_b64 s[26:27], s[26:27], exec
	s_and_b64 s[30:31], s[34:35], exec
	s_or_b64 s[26:27], s[26:27], s[30:31]
	s_andn2_b64 exec, exec, s[28:29]
	s_cbranch_execz .LBB21_28
.LBB21_24:                              ;   Parent Loop BB21_7 Depth=1
                                        ;     Parent Loop BB21_21 Depth=2
                                        ; =>    This Inner Loop Header: Depth=3
	v_sub_u32_e32 v4, 0, v15
	v_max_i32_e32 v4, v15, v4
	v_mul_hi_u32 v16, v4, v9
	v_ashrrev_i32_e32 v18, 31, v15
	v_xor_b32_e32 v18, s42, v18
	v_mul_lo_u32 v17, v16, s10
	v_add_u32_e32 v19, 1, v16
	v_sub_u32_e32 v4, v4, v17
	v_cmp_le_u32_e32 vcc, s10, v4
	v_subrev_u32_e32 v17, s10, v4
	v_cndmask_b32_e32 v16, v16, v19, vcc
	v_cndmask_b32_e32 v4, v4, v17, vcc
	v_add_u32_e32 v17, 1, v16
	v_cmp_le_u32_e32 vcc, s10, v4
	v_cndmask_b32_e32 v4, v16, v17, vcc
	v_xor_b32_e32 v4, v4, v18
	v_sub_u32_e32 v16, v4, v18
	v_cmp_eq_u32_e32 vcc, v16, v11
	s_and_saveexec_b64 s[30:31], vcc
	s_cbranch_execz .LBB21_26
; %bb.25:                               ;   in Loop: Header=BB21_24 Depth=3
	v_ashrrev_i32_e32 v4, 31, v3
	v_lshlrev_b64 v[17:18], 3, v[3:4]
	v_mov_b32_e32 v4, s17
	v_add_co_u32_e32 v17, vcc, s16, v17
	v_addc_co_u32_e32 v18, vcc, v4, v18, vcc
	global_load_dwordx2 v[17:18], v[17:18], off
	v_sub_u32_e32 v4, v15, v13
	v_add_u32_e32 v19, v4, v12
	v_ashrrev_i32_e32 v20, 31, v19
	v_lshlrev_b64 v[19:20], 3, v[19:20]
	v_mov_b32_e32 v4, s15
	v_add_co_u32_e32 v19, vcc, s14, v19
	v_addc_co_u32_e32 v20, vcc, v4, v20, vcc
	s_waitcnt vmcnt(0)
	global_store_dwordx2 v[19:20], v[17:18], off
.LBB21_26:                              ;   in Loop: Header=BB21_24 Depth=3
	s_or_b64 exec, exec, s[30:31]
	v_cmp_le_i32_e32 vcc, v16, v11
	s_mov_b64 s[30:31], -1
	s_mov_b64 s[34:35], -1
	s_and_saveexec_b64 s[36:37], vcc
	s_cbranch_execz .LBB21_23
; %bb.27:                               ;   in Loop: Header=BB21_24 Depth=3
	s_add_i32 s43, s43, -1
	s_cmp_eq_u32 s43, 0
	s_cselect_b64 s[30:31], -1, 0
	v_add_u32_e32 v15, 1, v15
	v_add_u32_e32 v3, 1, v3
	s_xor_b64 s[34:35], exec, -1
	s_orn2_b64 s[30:31], s[30:31], exec
	s_branch .LBB21_23
.LBB21_28:                              ;   in Loop: Header=BB21_21 Depth=2
	s_or_b64 exec, exec, s[28:29]
.LBB21_29:                              ;   in Loop: Header=BB21_21 Depth=2
	s_and_saveexec_b64 s[28:29], s[26:27]
	s_cbranch_execz .LBB21_20
; %bb.30:                               ;   in Loop: Header=BB21_21 Depth=2
	v_add_u32_e32 v2, 1, v2
	v_cmp_ge_i32_e32 vcc, v2, v5
	v_add_u32_e32 v14, s40, v14
	s_orn2_b64 s[24:25], vcc, exec
	s_branch .LBB21_20
.LBB21_31:
	s_endpgm
	.section	.rodata,"a",@progbits
	.p2align	6, 0x0
	.amdhsa_kernel _ZN9rocsparseL23gebsr2gebsr_fast_kernelIL20rocsparse_direction_0ELi16ELi16EdEEvii21rocsparse_index_base_PKT2_PKiS7_iiiiS2_PS3_PiS9_ii
		.amdhsa_group_segment_fixed_size 0
		.amdhsa_private_segment_fixed_size 0
		.amdhsa_kernarg_size 96
		.amdhsa_user_sgpr_count 6
		.amdhsa_user_sgpr_private_segment_buffer 1
		.amdhsa_user_sgpr_dispatch_ptr 0
		.amdhsa_user_sgpr_queue_ptr 0
		.amdhsa_user_sgpr_kernarg_segment_ptr 1
		.amdhsa_user_sgpr_dispatch_id 0
		.amdhsa_user_sgpr_flat_scratch_init 0
		.amdhsa_user_sgpr_private_segment_size 0
		.amdhsa_uses_dynamic_stack 0
		.amdhsa_system_sgpr_private_segment_wavefront_offset 0
		.amdhsa_system_sgpr_workgroup_id_x 1
		.amdhsa_system_sgpr_workgroup_id_y 0
		.amdhsa_system_sgpr_workgroup_id_z 0
		.amdhsa_system_sgpr_workgroup_info 0
		.amdhsa_system_vgpr_workitem_id 0
		.amdhsa_next_free_vgpr 21
		.amdhsa_next_free_sgpr 44
		.amdhsa_reserve_vcc 1
		.amdhsa_reserve_flat_scratch 0
		.amdhsa_float_round_mode_32 0
		.amdhsa_float_round_mode_16_64 0
		.amdhsa_float_denorm_mode_32 3
		.amdhsa_float_denorm_mode_16_64 3
		.amdhsa_dx10_clamp 1
		.amdhsa_ieee_mode 1
		.amdhsa_fp16_overflow 0
		.amdhsa_exception_fp_ieee_invalid_op 0
		.amdhsa_exception_fp_denorm_src 0
		.amdhsa_exception_fp_ieee_div_zero 0
		.amdhsa_exception_fp_ieee_overflow 0
		.amdhsa_exception_fp_ieee_underflow 0
		.amdhsa_exception_fp_ieee_inexact 0
		.amdhsa_exception_int_div_zero 0
	.end_amdhsa_kernel
	.section	.text._ZN9rocsparseL23gebsr2gebsr_fast_kernelIL20rocsparse_direction_0ELi16ELi16EdEEvii21rocsparse_index_base_PKT2_PKiS7_iiiiS2_PS3_PiS9_ii,"axG",@progbits,_ZN9rocsparseL23gebsr2gebsr_fast_kernelIL20rocsparse_direction_0ELi16ELi16EdEEvii21rocsparse_index_base_PKT2_PKiS7_iiiiS2_PS3_PiS9_ii,comdat
.Lfunc_end21:
	.size	_ZN9rocsparseL23gebsr2gebsr_fast_kernelIL20rocsparse_direction_0ELi16ELi16EdEEvii21rocsparse_index_base_PKT2_PKiS7_iiiiS2_PS3_PiS9_ii, .Lfunc_end21-_ZN9rocsparseL23gebsr2gebsr_fast_kernelIL20rocsparse_direction_0ELi16ELi16EdEEvii21rocsparse_index_base_PKT2_PKiS7_iiiiS2_PS3_PiS9_ii
                                        ; -- End function
	.set _ZN9rocsparseL23gebsr2gebsr_fast_kernelIL20rocsparse_direction_0ELi16ELi16EdEEvii21rocsparse_index_base_PKT2_PKiS7_iiiiS2_PS3_PiS9_ii.num_vgpr, 21
	.set _ZN9rocsparseL23gebsr2gebsr_fast_kernelIL20rocsparse_direction_0ELi16ELi16EdEEvii21rocsparse_index_base_PKT2_PKiS7_iiiiS2_PS3_PiS9_ii.num_agpr, 0
	.set _ZN9rocsparseL23gebsr2gebsr_fast_kernelIL20rocsparse_direction_0ELi16ELi16EdEEvii21rocsparse_index_base_PKT2_PKiS7_iiiiS2_PS3_PiS9_ii.numbered_sgpr, 44
	.set _ZN9rocsparseL23gebsr2gebsr_fast_kernelIL20rocsparse_direction_0ELi16ELi16EdEEvii21rocsparse_index_base_PKT2_PKiS7_iiiiS2_PS3_PiS9_ii.num_named_barrier, 0
	.set _ZN9rocsparseL23gebsr2gebsr_fast_kernelIL20rocsparse_direction_0ELi16ELi16EdEEvii21rocsparse_index_base_PKT2_PKiS7_iiiiS2_PS3_PiS9_ii.private_seg_size, 0
	.set _ZN9rocsparseL23gebsr2gebsr_fast_kernelIL20rocsparse_direction_0ELi16ELi16EdEEvii21rocsparse_index_base_PKT2_PKiS7_iiiiS2_PS3_PiS9_ii.uses_vcc, 1
	.set _ZN9rocsparseL23gebsr2gebsr_fast_kernelIL20rocsparse_direction_0ELi16ELi16EdEEvii21rocsparse_index_base_PKT2_PKiS7_iiiiS2_PS3_PiS9_ii.uses_flat_scratch, 0
	.set _ZN9rocsparseL23gebsr2gebsr_fast_kernelIL20rocsparse_direction_0ELi16ELi16EdEEvii21rocsparse_index_base_PKT2_PKiS7_iiiiS2_PS3_PiS9_ii.has_dyn_sized_stack, 0
	.set _ZN9rocsparseL23gebsr2gebsr_fast_kernelIL20rocsparse_direction_0ELi16ELi16EdEEvii21rocsparse_index_base_PKT2_PKiS7_iiiiS2_PS3_PiS9_ii.has_recursion, 0
	.set _ZN9rocsparseL23gebsr2gebsr_fast_kernelIL20rocsparse_direction_0ELi16ELi16EdEEvii21rocsparse_index_base_PKT2_PKiS7_iiiiS2_PS3_PiS9_ii.has_indirect_call, 0
	.section	.AMDGPU.csdata,"",@progbits
; Kernel info:
; codeLenInByte = 1480
; TotalNumSgprs: 48
; NumVgprs: 21
; ScratchSize: 0
; MemoryBound: 0
; FloatMode: 240
; IeeeMode: 1
; LDSByteSize: 0 bytes/workgroup (compile time only)
; SGPRBlocks: 5
; VGPRBlocks: 5
; NumSGPRsForWavesPerEU: 48
; NumVGPRsForWavesPerEU: 21
; Occupancy: 10
; WaveLimiterHint : 0
; COMPUTE_PGM_RSRC2:SCRATCH_EN: 0
; COMPUTE_PGM_RSRC2:USER_SGPR: 6
; COMPUTE_PGM_RSRC2:TRAP_HANDLER: 0
; COMPUTE_PGM_RSRC2:TGID_X_EN: 1
; COMPUTE_PGM_RSRC2:TGID_Y_EN: 0
; COMPUTE_PGM_RSRC2:TGID_Z_EN: 0
; COMPUTE_PGM_RSRC2:TIDIG_COMP_CNT: 0
	.section	.text._ZN9rocsparseL23gebsr2gebsr_fast_kernelIL20rocsparse_direction_0ELi32ELi32EdEEvii21rocsparse_index_base_PKT2_PKiS7_iiiiS2_PS3_PiS9_ii,"axG",@progbits,_ZN9rocsparseL23gebsr2gebsr_fast_kernelIL20rocsparse_direction_0ELi32ELi32EdEEvii21rocsparse_index_base_PKT2_PKiS7_iiiiS2_PS3_PiS9_ii,comdat
	.globl	_ZN9rocsparseL23gebsr2gebsr_fast_kernelIL20rocsparse_direction_0ELi32ELi32EdEEvii21rocsparse_index_base_PKT2_PKiS7_iiiiS2_PS3_PiS9_ii ; -- Begin function _ZN9rocsparseL23gebsr2gebsr_fast_kernelIL20rocsparse_direction_0ELi32ELi32EdEEvii21rocsparse_index_base_PKT2_PKiS7_iiiiS2_PS3_PiS9_ii
	.p2align	8
	.type	_ZN9rocsparseL23gebsr2gebsr_fast_kernelIL20rocsparse_direction_0ELi32ELi32EdEEvii21rocsparse_index_base_PKT2_PKiS7_iiiiS2_PS3_PiS9_ii,@function
_ZN9rocsparseL23gebsr2gebsr_fast_kernelIL20rocsparse_direction_0ELi32ELi32EdEEvii21rocsparse_index_base_PKT2_PKiS7_iiiiS2_PS3_PiS9_ii: ; @_ZN9rocsparseL23gebsr2gebsr_fast_kernelIL20rocsparse_direction_0ELi32ELi32EdEEvii21rocsparse_index_base_PKT2_PKiS7_iiiiS2_PS3_PiS9_ii
; %bb.0:
	s_load_dwordx4 s[8:11], s[4:5], 0x28
	s_load_dword s33, s[4:5], 0x38
	s_load_dwordx2 s[12:13], s[4:5], 0x58
	s_load_dword s3, s[4:5], 0x0
	s_load_dword s38, s[4:5], 0x8
	s_mov_b32 s39, 0
	s_waitcnt lgkmcnt(0)
	s_abs_i32 s2, s8
	v_cvt_f32_u32_e32 v1, s2
	s_sub_i32 s0, 0, s2
	v_cmp_gt_i32_e32 vcc, s12, v0
	v_mov_b32_e32 v5, 0
	v_rcp_iflag_f32_e32 v1, v1
	v_mul_f32_e32 v1, 0x4f7ffffe, v1
	v_cvt_u32_f32_e32 v2, v1
	v_mul_lo_u32 v1, s0, v2
	s_mul_i32 s0, s12, s6
	v_mul_hi_u32 v3, v2, v1
	v_add_u32_e32 v1, s0, v0
	v_sub_u32_e32 v4, 0, v1
	v_max_i32_e32 v6, v1, v4
	v_add_u32_e32 v2, v2, v3
	v_mul_hi_u32 v2, v6, v2
	v_xor_b32_e32 v4, s8, v1
	v_ashrrev_i32_e32 v4, 31, v4
	v_mul_lo_u32 v3, v2, s2
	v_add_u32_e32 v7, 1, v2
	v_sub_u32_e32 v3, v6, v3
	v_cmp_le_u32_e64 s[0:1], s2, v3
	v_subrev_u32_e32 v6, s2, v3
	v_cndmask_b32_e64 v2, v2, v7, s[0:1]
	v_cndmask_b32_e64 v3, v3, v6, s[0:1]
	v_add_u32_e32 v6, 1, v2
	v_cmp_le_u32_e64 s[0:1], s2, v3
	v_cndmask_b32_e64 v2, v2, v6, s[0:1]
	v_xor_b32_e32 v7, v2, v4
	v_sub_u32_e32 v2, v7, v4
	v_cmp_gt_i32_e64 s[0:1], s3, v2
	s_and_b64 s[2:3], vcc, s[0:1]
	v_mov_b32_e32 v6, 0
	s_and_saveexec_b64 s[0:1], s[2:3]
	s_cbranch_execnz .LBB22_3
; %bb.1:
	s_or_b64 exec, exec, s[0:1]
	s_cmp_ge_i32 s6, s10
	s_cbranch_scc0 .LBB22_4
.LBB22_2:
	s_cmp_lt_i32 s11, 1
	s_cbranch_scc0 .LBB22_5
	s_branch .LBB22_31
.LBB22_3:
	s_load_dwordx2 s[2:3], s[4:5], 0x18
	v_ashrrev_i32_e32 v3, 31, v2
	v_lshlrev_b64 v[2:3], 2, v[2:3]
	s_waitcnt lgkmcnt(0)
	v_mov_b32_e32 v5, s3
	v_add_co_u32_e32 v2, vcc, s2, v2
	v_addc_co_u32_e32 v3, vcc, v5, v3, vcc
	global_load_dwordx2 v[2:3], v[2:3], off
	s_waitcnt vmcnt(0)
	v_subrev_u32_e32 v6, s38, v2
	v_subrev_u32_e32 v5, s38, v3
	s_or_b64 exec, exec, s[0:1]
	s_cmp_ge_i32 s6, s10
	s_cbranch_scc1 .LBB22_2
.LBB22_4:
	s_load_dwordx2 s[0:1], s[4:5], 0x48
	s_ashr_i32 s7, s6, 31
	s_lshl_b64 s[2:3], s[6:7], 2
	s_waitcnt lgkmcnt(0)
	s_add_u32 s0, s0, s2
	s_addc_u32 s1, s1, s3
	s_load_dword s0, s[0:1], 0x0
	s_waitcnt lgkmcnt(0)
	s_sub_i32 s39, s0, s33
	s_cmp_lt_i32 s11, 1
	s_cbranch_scc1 .LBB22_31
.LBB22_5:
	s_cmp_gt_i32 s9, 0
	s_cselect_b64 s[2:3], -1, 0
	s_abs_i32 s10, s13
	v_cvt_f32_u32_e32 v2, s10
	s_load_dwordx2 s[6:7], s[4:5], 0x50
	s_load_dwordx2 s[14:15], s[4:5], 0x40
	;; [unrolled: 1-line block ×4, first 2 shown]
	s_sub_i32 s4, 0, s10
	v_sub_u32_e32 v7, v4, v7
	v_rcp_iflag_f32_e32 v2, v2
	v_mbcnt_lo_u32_b32 v3, -1, 0
	v_mov_b32_e32 v8, 0x7c
	v_mbcnt_hi_u32_b32 v3, -1, v3
	v_mul_f32_e32 v2, 0x4f7ffffe, v2
	v_cvt_u32_f32_e32 v2, v2
	v_cmp_eq_u32_e64 s[0:1], 31, v0
	s_mul_i32 s40, s9, s8
	s_add_i32 s41, s39, -1
	v_mul_lo_u32 v9, s4, v2
	s_ashr_i32 s42, s13, 31
	v_lshl_or_b32 v8, v3, 2, v8
	s_mov_b64 s[4:5], 0
	v_mul_hi_u32 v4, v2, v9
	v_mov_b32_e32 v10, 0
	v_add_u32_e32 v9, v2, v4
	v_cndmask_b32_e64 v2, 0, 1, s[2:3]
	v_mov_b32_e32 v4, 0
	v_cmp_ne_u32_e64 s[2:3], 1, v2
	s_branch .LBB22_7
.LBB22_6:                               ;   in Loop: Header=BB22_7 Depth=1
	s_or_b64 exec, exec, s[20:21]
	s_waitcnt lgkmcnt(0)
	v_add_u32_e32 v4, 1, v11
	v_cmp_le_i32_e32 vcc, s11, v4
	s_or_b64 s[4:5], vcc, s[4:5]
	s_andn2_b64 exec, exec, s[4:5]
	s_cbranch_execz .LBB22_31
.LBB22_7:                               ; =>This Loop Header: Depth=1
                                        ;     Child Loop BB22_11 Depth 2
                                        ;       Child Loop BB22_13 Depth 3
                                        ;     Child Loop BB22_21 Depth 2
                                        ;       Child Loop BB22_24 Depth 3
	v_cmp_lt_i32_e32 vcc, v6, v5
	v_mov_b32_e32 v11, s11
	s_and_saveexec_b64 s[20:21], vcc
	s_cbranch_execz .LBB22_16
; %bb.8:                                ;   in Loop: Header=BB22_7 Depth=1
	s_mov_b64 s[22:23], 0
	v_mov_b32_e32 v11, s11
	v_mov_b32_e32 v2, v6
	s_branch .LBB22_11
.LBB22_9:                               ;   in Loop: Header=BB22_11 Depth=2
	s_mov_b64 s[24:25], 0
.LBB22_10:                              ;   in Loop: Header=BB22_11 Depth=2
	v_add_u32_e32 v2, 1, v2
	v_cmp_ge_i32_e32 vcc, v2, v5
	s_or_b64 s[24:25], s[24:25], vcc
	s_and_b64 s[24:25], exec, s[24:25]
	s_or_b64 s[22:23], s[24:25], s[22:23]
	s_andn2_b64 exec, exec, s[22:23]
	s_cbranch_execz .LBB22_15
.LBB22_11:                              ;   Parent Loop BB22_7 Depth=1
                                        ; =>  This Loop Header: Depth=2
                                        ;       Child Loop BB22_13 Depth 3
	s_and_b64 vcc, exec, s[2:3]
	s_cbranch_vccnz .LBB22_9
; %bb.12:                               ;   in Loop: Header=BB22_11 Depth=2
	v_ashrrev_i32_e32 v3, 31, v2
	v_lshlrev_b64 v[12:13], 2, v[2:3]
	s_waitcnt lgkmcnt(0)
	v_mov_b32_e32 v3, s19
	v_add_co_u32_e32 v12, vcc, s18, v12
	v_addc_co_u32_e32 v13, vcc, v3, v13, vcc
	global_load_dword v3, v[12:13], off
	s_mov_b32 s30, 0
	s_mov_b64 s[28:29], 0
	s_mov_b64 s[26:27], 0
                                        ; implicit-def: $sgpr24_sgpr25
	s_waitcnt vmcnt(0)
	v_subrev_u32_e32 v3, s38, v3
	v_mul_lo_u32 v3, v3, s9
.LBB22_13:                              ;   Parent Loop BB22_7 Depth=1
                                        ;     Parent Loop BB22_11 Depth=2
                                        ; =>    This Inner Loop Header: Depth=3
	v_add_u32_e32 v12, s30, v3
	v_sub_u32_e32 v14, 0, v12
	v_ashrrev_i32_e32 v13, 31, v12
	v_max_i32_e32 v12, v12, v14
	v_mul_hi_u32 v14, v12, v9
	v_xor_b32_e32 v13, s42, v13
	s_add_i32 s30, s30, 1
	v_mul_lo_u32 v15, v14, s10
	v_add_u32_e32 v16, 1, v14
	v_sub_u32_e32 v12, v12, v15
	v_cmp_le_u32_e32 vcc, s10, v12
	v_subrev_u32_e32 v15, s10, v12
	v_cndmask_b32_e32 v14, v14, v16, vcc
	v_cndmask_b32_e32 v12, v12, v15, vcc
	v_add_u32_e32 v15, 1, v14
	v_cmp_le_u32_e32 vcc, s10, v12
	v_cndmask_b32_e32 v12, v14, v15, vcc
	v_xor_b32_e32 v12, v12, v13
	v_sub_u32_e32 v12, v12, v13
	v_cmp_ge_i32_e32 vcc, v12, v4
	s_or_b64 s[28:29], vcc, s[28:29]
	s_cmp_ge_i32 s30, s9
	s_cselect_b64 s[34:35], -1, 0
	s_or_b64 s[34:35], vcc, s[34:35]
	s_and_b64 s[34:35], exec, s[34:35]
	s_or_b64 s[26:27], s[34:35], s[26:27]
	s_andn2_b64 s[24:25], s[24:25], exec
	s_and_b64 s[34:35], s[28:29], exec
	v_cndmask_b32_e32 v11, v11, v12, vcc
	v_cndmask_b32_e32 v6, v6, v2, vcc
	s_or_b64 s[24:25], s[24:25], s[34:35]
	s_andn2_b64 exec, exec, s[26:27]
	s_cbranch_execnz .LBB22_13
; %bb.14:                               ;   in Loop: Header=BB22_11 Depth=2
	s_or_b64 exec, exec, s[26:27]
	s_branch .LBB22_10
.LBB22_15:                              ;   in Loop: Header=BB22_7 Depth=1
	s_or_b64 exec, exec, s[22:23]
.LBB22_16:                              ;   in Loop: Header=BB22_7 Depth=1
	s_or_b64 exec, exec, s[20:21]
	v_mov_b32_dpp v2, v11 row_shr:1 row_mask:0xf bank_mask:0xf
	v_min_i32_e32 v2, v2, v11
	s_nop 1
	v_mov_b32_dpp v3, v2 row_shr:2 row_mask:0xf bank_mask:0xf
	v_min_i32_e32 v2, v3, v2
	s_nop 1
	;; [unrolled: 3-line block ×4, first 2 shown]
	v_mov_b32_dpp v3, v2 row_bcast:15 row_mask:0xa bank_mask:0xf
	v_min_i32_e32 v2, v3, v2
	v_cmp_gt_i32_e32 vcc, s11, v2
	s_and_b64 s[22:23], s[0:1], vcc
	s_and_saveexec_b64 s[20:21], s[22:23]
	s_cbranch_execz .LBB22_18
; %bb.17:                               ;   in Loop: Header=BB22_7 Depth=1
	v_add_u32_e32 v3, s39, v10
	v_ashrrev_i32_e32 v4, 31, v3
	v_lshlrev_b64 v[3:4], 2, v[3:4]
	v_add_u32_e32 v11, 1, v10
	s_waitcnt lgkmcnt(0)
	v_mov_b32_e32 v10, s7
	v_add_co_u32_e32 v3, vcc, s6, v3
	v_addc_co_u32_e32 v4, vcc, v10, v4, vcc
	v_add_u32_e32 v10, s33, v2
	global_store_dword v[3:4], v10, off
	v_mov_b32_e32 v10, v11
.LBB22_18:                              ;   in Loop: Header=BB22_7 Depth=1
	s_or_b64 exec, exec, s[20:21]
	ds_bpermute_b32 v11, v8, v2
	ds_bpermute_b32 v10, v8, v10
	v_cmp_lt_i32_e32 vcc, v6, v5
	s_and_saveexec_b64 s[20:21], vcc
	s_cbranch_execz .LBB22_6
; %bb.19:                               ;   in Loop: Header=BB22_7 Depth=1
	s_waitcnt lgkmcnt(0)
	v_add_u32_e32 v2, s41, v10
	v_mad_u64_u32 v[2:3], s[22:23], v2, s12, v[0:1]
	v_add_u32_e32 v3, v7, v6
	v_mul_lo_u32 v13, v11, s13
	v_mad_u64_u32 v[3:4], s[22:23], s8, v3, v[1:2]
	v_mul_lo_u32 v12, v2, s13
	s_mov_b64 s[22:23], 0
	v_mul_lo_u32 v14, s9, v3
	v_mov_b32_e32 v2, v6
	s_branch .LBB22_21
.LBB22_20:                              ;   in Loop: Header=BB22_21 Depth=2
	s_or_b64 exec, exec, s[28:29]
	s_and_b64 s[24:25], exec, s[24:25]
	s_or_b64 s[22:23], s[24:25], s[22:23]
	s_andn2_b64 exec, exec, s[22:23]
	s_cbranch_execz .LBB22_6
.LBB22_21:                              ;   Parent Loop BB22_7 Depth=1
                                        ; =>  This Loop Header: Depth=2
                                        ;       Child Loop BB22_24 Depth 3
	s_mov_b64 s[24:25], -1
	s_and_b64 vcc, exec, s[2:3]
	s_mov_b64 s[26:27], -1
	s_cbranch_vccnz .LBB22_29
; %bb.22:                               ;   in Loop: Header=BB22_21 Depth=2
	v_ashrrev_i32_e32 v3, 31, v2
	v_lshlrev_b64 v[3:4], 2, v[2:3]
	v_mov_b32_e32 v15, s19
	v_add_co_u32_e32 v3, vcc, s18, v3
	v_addc_co_u32_e32 v4, vcc, v15, v4, vcc
	global_load_dword v3, v[3:4], off
	s_mov_b64 s[28:29], 0
	s_mov_b32 s43, s9
                                        ; implicit-def: $sgpr26_sgpr27
	s_waitcnt vmcnt(0)
	v_subrev_u32_e32 v3, s38, v3
	v_mul_lo_u32 v15, v3, s9
	v_mov_b32_e32 v3, v14
	s_branch .LBB22_24
.LBB22_23:                              ;   in Loop: Header=BB22_24 Depth=3
	s_or_b64 exec, exec, s[36:37]
	s_xor_b64 s[34:35], s[34:35], -1
	s_and_b64 s[30:31], exec, s[30:31]
	s_or_b64 s[28:29], s[30:31], s[28:29]
	s_andn2_b64 s[26:27], s[26:27], exec
	s_and_b64 s[30:31], s[34:35], exec
	s_or_b64 s[26:27], s[26:27], s[30:31]
	s_andn2_b64 exec, exec, s[28:29]
	s_cbranch_execz .LBB22_28
.LBB22_24:                              ;   Parent Loop BB22_7 Depth=1
                                        ;     Parent Loop BB22_21 Depth=2
                                        ; =>    This Inner Loop Header: Depth=3
	v_sub_u32_e32 v4, 0, v15
	v_max_i32_e32 v4, v15, v4
	v_mul_hi_u32 v16, v4, v9
	v_ashrrev_i32_e32 v18, 31, v15
	v_xor_b32_e32 v18, s42, v18
	v_mul_lo_u32 v17, v16, s10
	v_add_u32_e32 v19, 1, v16
	v_sub_u32_e32 v4, v4, v17
	v_cmp_le_u32_e32 vcc, s10, v4
	v_subrev_u32_e32 v17, s10, v4
	v_cndmask_b32_e32 v16, v16, v19, vcc
	v_cndmask_b32_e32 v4, v4, v17, vcc
	v_add_u32_e32 v17, 1, v16
	v_cmp_le_u32_e32 vcc, s10, v4
	v_cndmask_b32_e32 v4, v16, v17, vcc
	v_xor_b32_e32 v4, v4, v18
	v_sub_u32_e32 v16, v4, v18
	v_cmp_eq_u32_e32 vcc, v16, v11
	s_and_saveexec_b64 s[30:31], vcc
	s_cbranch_execz .LBB22_26
; %bb.25:                               ;   in Loop: Header=BB22_24 Depth=3
	v_ashrrev_i32_e32 v4, 31, v3
	v_lshlrev_b64 v[17:18], 3, v[3:4]
	v_mov_b32_e32 v4, s17
	v_add_co_u32_e32 v17, vcc, s16, v17
	v_addc_co_u32_e32 v18, vcc, v4, v18, vcc
	global_load_dwordx2 v[17:18], v[17:18], off
	v_sub_u32_e32 v4, v15, v13
	v_add_u32_e32 v19, v4, v12
	v_ashrrev_i32_e32 v20, 31, v19
	v_lshlrev_b64 v[19:20], 3, v[19:20]
	v_mov_b32_e32 v4, s15
	v_add_co_u32_e32 v19, vcc, s14, v19
	v_addc_co_u32_e32 v20, vcc, v4, v20, vcc
	s_waitcnt vmcnt(0)
	global_store_dwordx2 v[19:20], v[17:18], off
.LBB22_26:                              ;   in Loop: Header=BB22_24 Depth=3
	s_or_b64 exec, exec, s[30:31]
	v_cmp_le_i32_e32 vcc, v16, v11
	s_mov_b64 s[30:31], -1
	s_mov_b64 s[34:35], -1
	s_and_saveexec_b64 s[36:37], vcc
	s_cbranch_execz .LBB22_23
; %bb.27:                               ;   in Loop: Header=BB22_24 Depth=3
	s_add_i32 s43, s43, -1
	s_cmp_eq_u32 s43, 0
	s_cselect_b64 s[30:31], -1, 0
	v_add_u32_e32 v15, 1, v15
	v_add_u32_e32 v3, 1, v3
	s_xor_b64 s[34:35], exec, -1
	s_orn2_b64 s[30:31], s[30:31], exec
	s_branch .LBB22_23
.LBB22_28:                              ;   in Loop: Header=BB22_21 Depth=2
	s_or_b64 exec, exec, s[28:29]
.LBB22_29:                              ;   in Loop: Header=BB22_21 Depth=2
	s_and_saveexec_b64 s[28:29], s[26:27]
	s_cbranch_execz .LBB22_20
; %bb.30:                               ;   in Loop: Header=BB22_21 Depth=2
	v_add_u32_e32 v2, 1, v2
	v_cmp_ge_i32_e32 vcc, v2, v5
	v_add_u32_e32 v14, s40, v14
	s_orn2_b64 s[24:25], vcc, exec
	s_branch .LBB22_20
.LBB22_31:
	s_endpgm
	.section	.rodata,"a",@progbits
	.p2align	6, 0x0
	.amdhsa_kernel _ZN9rocsparseL23gebsr2gebsr_fast_kernelIL20rocsparse_direction_0ELi32ELi32EdEEvii21rocsparse_index_base_PKT2_PKiS7_iiiiS2_PS3_PiS9_ii
		.amdhsa_group_segment_fixed_size 0
		.amdhsa_private_segment_fixed_size 0
		.amdhsa_kernarg_size 96
		.amdhsa_user_sgpr_count 6
		.amdhsa_user_sgpr_private_segment_buffer 1
		.amdhsa_user_sgpr_dispatch_ptr 0
		.amdhsa_user_sgpr_queue_ptr 0
		.amdhsa_user_sgpr_kernarg_segment_ptr 1
		.amdhsa_user_sgpr_dispatch_id 0
		.amdhsa_user_sgpr_flat_scratch_init 0
		.amdhsa_user_sgpr_private_segment_size 0
		.amdhsa_uses_dynamic_stack 0
		.amdhsa_system_sgpr_private_segment_wavefront_offset 0
		.amdhsa_system_sgpr_workgroup_id_x 1
		.amdhsa_system_sgpr_workgroup_id_y 0
		.amdhsa_system_sgpr_workgroup_id_z 0
		.amdhsa_system_sgpr_workgroup_info 0
		.amdhsa_system_vgpr_workitem_id 0
		.amdhsa_next_free_vgpr 21
		.amdhsa_next_free_sgpr 44
		.amdhsa_reserve_vcc 1
		.amdhsa_reserve_flat_scratch 0
		.amdhsa_float_round_mode_32 0
		.amdhsa_float_round_mode_16_64 0
		.amdhsa_float_denorm_mode_32 3
		.amdhsa_float_denorm_mode_16_64 3
		.amdhsa_dx10_clamp 1
		.amdhsa_ieee_mode 1
		.amdhsa_fp16_overflow 0
		.amdhsa_exception_fp_ieee_invalid_op 0
		.amdhsa_exception_fp_denorm_src 0
		.amdhsa_exception_fp_ieee_div_zero 0
		.amdhsa_exception_fp_ieee_overflow 0
		.amdhsa_exception_fp_ieee_underflow 0
		.amdhsa_exception_fp_ieee_inexact 0
		.amdhsa_exception_int_div_zero 0
	.end_amdhsa_kernel
	.section	.text._ZN9rocsparseL23gebsr2gebsr_fast_kernelIL20rocsparse_direction_0ELi32ELi32EdEEvii21rocsparse_index_base_PKT2_PKiS7_iiiiS2_PS3_PiS9_ii,"axG",@progbits,_ZN9rocsparseL23gebsr2gebsr_fast_kernelIL20rocsparse_direction_0ELi32ELi32EdEEvii21rocsparse_index_base_PKT2_PKiS7_iiiiS2_PS3_PiS9_ii,comdat
.Lfunc_end22:
	.size	_ZN9rocsparseL23gebsr2gebsr_fast_kernelIL20rocsparse_direction_0ELi32ELi32EdEEvii21rocsparse_index_base_PKT2_PKiS7_iiiiS2_PS3_PiS9_ii, .Lfunc_end22-_ZN9rocsparseL23gebsr2gebsr_fast_kernelIL20rocsparse_direction_0ELi32ELi32EdEEvii21rocsparse_index_base_PKT2_PKiS7_iiiiS2_PS3_PiS9_ii
                                        ; -- End function
	.set _ZN9rocsparseL23gebsr2gebsr_fast_kernelIL20rocsparse_direction_0ELi32ELi32EdEEvii21rocsparse_index_base_PKT2_PKiS7_iiiiS2_PS3_PiS9_ii.num_vgpr, 21
	.set _ZN9rocsparseL23gebsr2gebsr_fast_kernelIL20rocsparse_direction_0ELi32ELi32EdEEvii21rocsparse_index_base_PKT2_PKiS7_iiiiS2_PS3_PiS9_ii.num_agpr, 0
	.set _ZN9rocsparseL23gebsr2gebsr_fast_kernelIL20rocsparse_direction_0ELi32ELi32EdEEvii21rocsparse_index_base_PKT2_PKiS7_iiiiS2_PS3_PiS9_ii.numbered_sgpr, 44
	.set _ZN9rocsparseL23gebsr2gebsr_fast_kernelIL20rocsparse_direction_0ELi32ELi32EdEEvii21rocsparse_index_base_PKT2_PKiS7_iiiiS2_PS3_PiS9_ii.num_named_barrier, 0
	.set _ZN9rocsparseL23gebsr2gebsr_fast_kernelIL20rocsparse_direction_0ELi32ELi32EdEEvii21rocsparse_index_base_PKT2_PKiS7_iiiiS2_PS3_PiS9_ii.private_seg_size, 0
	.set _ZN9rocsparseL23gebsr2gebsr_fast_kernelIL20rocsparse_direction_0ELi32ELi32EdEEvii21rocsparse_index_base_PKT2_PKiS7_iiiiS2_PS3_PiS9_ii.uses_vcc, 1
	.set _ZN9rocsparseL23gebsr2gebsr_fast_kernelIL20rocsparse_direction_0ELi32ELi32EdEEvii21rocsparse_index_base_PKT2_PKiS7_iiiiS2_PS3_PiS9_ii.uses_flat_scratch, 0
	.set _ZN9rocsparseL23gebsr2gebsr_fast_kernelIL20rocsparse_direction_0ELi32ELi32EdEEvii21rocsparse_index_base_PKT2_PKiS7_iiiiS2_PS3_PiS9_ii.has_dyn_sized_stack, 0
	.set _ZN9rocsparseL23gebsr2gebsr_fast_kernelIL20rocsparse_direction_0ELi32ELi32EdEEvii21rocsparse_index_base_PKT2_PKiS7_iiiiS2_PS3_PiS9_ii.has_recursion, 0
	.set _ZN9rocsparseL23gebsr2gebsr_fast_kernelIL20rocsparse_direction_0ELi32ELi32EdEEvii21rocsparse_index_base_PKT2_PKiS7_iiiiS2_PS3_PiS9_ii.has_indirect_call, 0
	.section	.AMDGPU.csdata,"",@progbits
; Kernel info:
; codeLenInByte = 1504
; TotalNumSgprs: 48
; NumVgprs: 21
; ScratchSize: 0
; MemoryBound: 0
; FloatMode: 240
; IeeeMode: 1
; LDSByteSize: 0 bytes/workgroup (compile time only)
; SGPRBlocks: 5
; VGPRBlocks: 5
; NumSGPRsForWavesPerEU: 48
; NumVGPRsForWavesPerEU: 21
; Occupancy: 10
; WaveLimiterHint : 0
; COMPUTE_PGM_RSRC2:SCRATCH_EN: 0
; COMPUTE_PGM_RSRC2:USER_SGPR: 6
; COMPUTE_PGM_RSRC2:TRAP_HANDLER: 0
; COMPUTE_PGM_RSRC2:TGID_X_EN: 1
; COMPUTE_PGM_RSRC2:TGID_Y_EN: 0
; COMPUTE_PGM_RSRC2:TGID_Z_EN: 0
; COMPUTE_PGM_RSRC2:TIDIG_COMP_CNT: 0
	.section	.text._ZN9rocsparseL23gebsr2gebsr_fast_kernelIL20rocsparse_direction_1ELi16ELi2EdEEvii21rocsparse_index_base_PKT2_PKiS7_iiiiS2_PS3_PiS9_ii,"axG",@progbits,_ZN9rocsparseL23gebsr2gebsr_fast_kernelIL20rocsparse_direction_1ELi16ELi2EdEEvii21rocsparse_index_base_PKT2_PKiS7_iiiiS2_PS3_PiS9_ii,comdat
	.globl	_ZN9rocsparseL23gebsr2gebsr_fast_kernelIL20rocsparse_direction_1ELi16ELi2EdEEvii21rocsparse_index_base_PKT2_PKiS7_iiiiS2_PS3_PiS9_ii ; -- Begin function _ZN9rocsparseL23gebsr2gebsr_fast_kernelIL20rocsparse_direction_1ELi16ELi2EdEEvii21rocsparse_index_base_PKT2_PKiS7_iiiiS2_PS3_PiS9_ii
	.p2align	8
	.type	_ZN9rocsparseL23gebsr2gebsr_fast_kernelIL20rocsparse_direction_1ELi16ELi2EdEEvii21rocsparse_index_base_PKT2_PKiS7_iiiiS2_PS3_PiS9_ii,@function
_ZN9rocsparseL23gebsr2gebsr_fast_kernelIL20rocsparse_direction_1ELi16ELi2EdEEvii21rocsparse_index_base_PKT2_PKiS7_iiiiS2_PS3_PiS9_ii: ; @_ZN9rocsparseL23gebsr2gebsr_fast_kernelIL20rocsparse_direction_1ELi16ELi2EdEEvii21rocsparse_index_base_PKT2_PKiS7_iiiiS2_PS3_PiS9_ii
; %bb.0:
	s_load_dwordx4 s[8:11], s[4:5], 0x28
	s_load_dword s33, s[4:5], 0x38
	s_load_dwordx2 s[12:13], s[4:5], 0x58
	v_lshrrev_b32_e32 v4, 1, v0
	s_lshl_b32 s2, s6, 3
	s_waitcnt lgkmcnt(0)
	s_abs_i32 s3, s8
	v_cvt_f32_u32_e32 v1, s3
	s_sub_i32 s0, 0, s3
	v_and_b32_e32 v0, 1, v0
	s_load_dword s6, s[4:5], 0x0
	s_load_dword s38, s[4:5], 0x8
	v_rcp_iflag_f32_e32 v1, v1
	v_cmp_gt_i32_e32 vcc, s12, v0
	v_mov_b32_e32 v7, 0
	v_mov_b32_e32 v8, 0
	v_mul_f32_e32 v1, 0x4f7ffffe, v1
	v_cvt_u32_f32_e32 v5, v1
	v_or_b32_e32 v1, s2, v4
	v_mul_lo_u32 v6, s0, v5
	v_mad_u64_u32 v[2:3], s[0:1], v1, s12, v[0:1]
	v_mul_hi_u32 v3, v5, v6
	v_sub_u32_e32 v6, 0, v2
	v_max_i32_e32 v6, v2, v6
	v_xor_b32_e32 v2, s8, v2
	v_add_u32_e32 v3, v5, v3
	v_mul_hi_u32 v3, v6, v3
	v_ashrrev_i32_e32 v5, 31, v2
	v_mul_lo_u32 v9, v3, s3
	v_add_u32_e32 v2, 1, v3
	v_sub_u32_e32 v6, v6, v9
	v_cmp_le_u32_e64 s[0:1], s3, v6
	v_cndmask_b32_e64 v2, v3, v2, s[0:1]
	v_subrev_u32_e32 v3, s3, v6
	v_cndmask_b32_e64 v3, v6, v3, s[0:1]
	v_add_u32_e32 v6, 1, v2
	v_cmp_le_u32_e64 s[0:1], s3, v3
	v_cndmask_b32_e64 v2, v2, v6, s[0:1]
	v_xor_b32_e32 v6, v2, v5
	v_sub_u32_e32 v2, v6, v5
	s_waitcnt lgkmcnt(0)
	v_cmp_gt_i32_e64 s[0:1], s6, v2
	s_and_b64 s[6:7], vcc, s[0:1]
	v_mov_b32_e32 v9, 0
	s_and_saveexec_b64 s[0:1], s[6:7]
	s_cbranch_execnz .LBB23_3
; %bb.1:
	s_or_b64 exec, exec, s[0:1]
	v_cmp_gt_i32_e32 vcc, s10, v1
	s_and_saveexec_b64 s[0:1], vcc
	s_cbranch_execnz .LBB23_4
.LBB23_2:
	s_or_b64 exec, exec, s[0:1]
	s_cmp_lt_i32 s11, 1
	s_cbranch_scc0 .LBB23_5
	s_branch .LBB23_31
.LBB23_3:
	s_load_dwordx2 s[6:7], s[4:5], 0x18
	v_ashrrev_i32_e32 v3, 31, v2
	v_lshlrev_b64 v[2:3], 2, v[2:3]
	s_waitcnt lgkmcnt(0)
	v_mov_b32_e32 v8, s7
	v_add_co_u32_e32 v2, vcc, s6, v2
	v_addc_co_u32_e32 v3, vcc, v8, v3, vcc
	global_load_dwordx2 v[2:3], v[2:3], off
	s_waitcnt vmcnt(0)
	v_subrev_u32_e32 v9, s38, v2
	v_subrev_u32_e32 v8, s38, v3
	s_or_b64 exec, exec, s[0:1]
	v_cmp_gt_i32_e32 vcc, s10, v1
	s_and_saveexec_b64 s[0:1], vcc
	s_cbranch_execz .LBB23_2
.LBB23_4:
	s_load_dwordx2 s[6:7], s[4:5], 0x48
	v_ashrrev_i32_e32 v2, 31, v1
	v_lshlrev_b64 v[1:2], 2, v[1:2]
	s_waitcnt lgkmcnt(0)
	v_mov_b32_e32 v3, s7
	v_add_co_u32_e32 v1, vcc, s6, v1
	v_addc_co_u32_e32 v2, vcc, v3, v2, vcc
	global_load_dword v1, v[1:2], off
	s_waitcnt vmcnt(0)
	v_subrev_u32_e32 v7, s33, v1
	s_or_b64 exec, exec, s[0:1]
	s_cmp_lt_i32 s11, 1
	s_cbranch_scc1 .LBB23_31
.LBB23_5:
	s_cmp_gt_i32 s9, 0
	s_cselect_b64 s[20:21], -1, 0
	s_abs_i32 s10, s13
	v_cvt_f32_u32_e32 v1, s10
	s_sub_i32 s3, 0, s10
	s_load_dwordx2 s[6:7], s[4:5], 0x50
	s_load_dwordx2 s[14:15], s[4:5], 0x40
	;; [unrolled: 1-line block ×4, first 2 shown]
	v_add_u32_e32 v4, s2, v4
	v_rcp_iflag_f32_e32 v1, v1
	v_cmp_ne_u32_e64 s[0:1], 0, v0
	v_add_u32_e32 v10, -1, v7
	s_ashr_i32 s39, s13, 31
	v_mul_f32_e32 v1, 0x4f7ffffe, v1
	v_cvt_u32_f32_e32 v3, v1
	v_mbcnt_lo_u32_b32 v1, -1, 0
	v_mbcnt_hi_u32_b32 v11, -1, v1
	v_lshl_or_b32 v11, v11, 2, 4
	v_mul_lo_u32 v2, s3, v3
	s_mul_i32 s40, s9, s8
	s_mov_b64 s[4:5], 0
	v_mov_b32_e32 v13, 0
	v_mul_hi_u32 v12, v3, v2
	v_mad_u64_u32 v[1:2], s[2:3], s12, v4, v[0:1]
	v_sub_u32_e32 v2, v5, v6
	v_add_u32_e32 v12, v3, v12
	v_cndmask_b32_e64 v3, 0, 1, s[20:21]
	v_mov_b32_e32 v5, 0
	v_cmp_ne_u32_e64 s[2:3], 1, v3
	s_branch .LBB23_7
.LBB23_6:                               ;   in Loop: Header=BB23_7 Depth=1
	s_or_b64 exec, exec, s[20:21]
	s_waitcnt lgkmcnt(0)
	v_add_u32_e32 v5, 1, v14
	v_cmp_le_i32_e32 vcc, s11, v5
	s_or_b64 s[4:5], vcc, s[4:5]
	s_andn2_b64 exec, exec, s[4:5]
	s_cbranch_execz .LBB23_31
.LBB23_7:                               ; =>This Loop Header: Depth=1
                                        ;     Child Loop BB23_11 Depth 2
                                        ;       Child Loop BB23_13 Depth 3
                                        ;     Child Loop BB23_21 Depth 2
                                        ;       Child Loop BB23_24 Depth 3
	v_cmp_lt_i32_e32 vcc, v9, v8
	v_mov_b32_e32 v6, s11
	s_and_saveexec_b64 s[20:21], vcc
	s_cbranch_execz .LBB23_16
; %bb.8:                                ;   in Loop: Header=BB23_7 Depth=1
	s_mov_b64 s[22:23], 0
	v_mov_b32_e32 v6, s11
	v_mov_b32_e32 v3, v9
	s_branch .LBB23_11
.LBB23_9:                               ;   in Loop: Header=BB23_11 Depth=2
	s_mov_b64 s[24:25], 0
.LBB23_10:                              ;   in Loop: Header=BB23_11 Depth=2
	v_add_u32_e32 v3, 1, v3
	v_cmp_ge_i32_e32 vcc, v3, v8
	s_or_b64 s[24:25], s[24:25], vcc
	s_and_b64 s[24:25], exec, s[24:25]
	s_or_b64 s[22:23], s[24:25], s[22:23]
	s_andn2_b64 exec, exec, s[22:23]
	s_cbranch_execz .LBB23_15
.LBB23_11:                              ;   Parent Loop BB23_7 Depth=1
                                        ; =>  This Loop Header: Depth=2
                                        ;       Child Loop BB23_13 Depth 3
	s_and_b64 vcc, exec, s[2:3]
	s_cbranch_vccnz .LBB23_9
; %bb.12:                               ;   in Loop: Header=BB23_11 Depth=2
	v_ashrrev_i32_e32 v4, 31, v3
	v_lshlrev_b64 v[14:15], 2, v[3:4]
	s_waitcnt lgkmcnt(0)
	v_mov_b32_e32 v4, s19
	v_add_co_u32_e32 v14, vcc, s18, v14
	v_addc_co_u32_e32 v15, vcc, v4, v15, vcc
	global_load_dword v4, v[14:15], off
	s_mov_b32 s30, 0
	s_mov_b64 s[28:29], 0
	s_mov_b64 s[26:27], 0
                                        ; implicit-def: $sgpr24_sgpr25
	s_waitcnt vmcnt(0)
	v_subrev_u32_e32 v4, s38, v4
	v_mul_lo_u32 v4, v4, s9
.LBB23_13:                              ;   Parent Loop BB23_7 Depth=1
                                        ;     Parent Loop BB23_11 Depth=2
                                        ; =>    This Inner Loop Header: Depth=3
	v_add_u32_e32 v14, s30, v4
	v_sub_u32_e32 v16, 0, v14
	v_ashrrev_i32_e32 v15, 31, v14
	v_max_i32_e32 v14, v14, v16
	v_mul_hi_u32 v16, v14, v12
	v_xor_b32_e32 v15, s39, v15
	s_add_i32 s30, s30, 1
	v_mul_lo_u32 v17, v16, s10
	v_add_u32_e32 v18, 1, v16
	v_sub_u32_e32 v14, v14, v17
	v_cmp_le_u32_e32 vcc, s10, v14
	v_subrev_u32_e32 v17, s10, v14
	v_cndmask_b32_e32 v16, v16, v18, vcc
	v_cndmask_b32_e32 v14, v14, v17, vcc
	v_add_u32_e32 v17, 1, v16
	v_cmp_le_u32_e32 vcc, s10, v14
	v_cndmask_b32_e32 v14, v16, v17, vcc
	v_xor_b32_e32 v14, v14, v15
	v_sub_u32_e32 v14, v14, v15
	v_cmp_ge_i32_e32 vcc, v14, v5
	s_or_b64 s[28:29], vcc, s[28:29]
	s_cmp_ge_i32 s30, s9
	s_cselect_b64 s[34:35], -1, 0
	s_or_b64 s[34:35], vcc, s[34:35]
	s_and_b64 s[34:35], exec, s[34:35]
	s_or_b64 s[26:27], s[34:35], s[26:27]
	s_andn2_b64 s[24:25], s[24:25], exec
	s_and_b64 s[34:35], s[28:29], exec
	v_cndmask_b32_e32 v6, v6, v14, vcc
	v_cndmask_b32_e32 v9, v9, v3, vcc
	s_or_b64 s[24:25], s[24:25], s[34:35]
	s_andn2_b64 exec, exec, s[26:27]
	s_cbranch_execnz .LBB23_13
; %bb.14:                               ;   in Loop: Header=BB23_11 Depth=2
	s_or_b64 exec, exec, s[26:27]
	s_branch .LBB23_10
.LBB23_15:                              ;   in Loop: Header=BB23_7 Depth=1
	s_or_b64 exec, exec, s[22:23]
.LBB23_16:                              ;   in Loop: Header=BB23_7 Depth=1
	s_or_b64 exec, exec, s[20:21]
	v_mov_b32_dpp v3, v6 row_shr:1 row_mask:0xf bank_mask:0xf
	v_min_i32_e32 v3, v3, v6
	v_cmp_gt_i32_e32 vcc, s11, v3
	s_and_b64 s[22:23], s[0:1], vcc
	s_and_saveexec_b64 s[20:21], s[22:23]
	s_cbranch_execz .LBB23_18
; %bb.17:                               ;   in Loop: Header=BB23_7 Depth=1
	v_add_u32_e32 v4, v13, v7
	v_ashrrev_i32_e32 v5, 31, v4
	v_lshlrev_b64 v[4:5], 2, v[4:5]
	v_add_u32_e32 v6, 1, v13
	s_waitcnt lgkmcnt(0)
	v_mov_b32_e32 v13, s7
	v_add_co_u32_e32 v4, vcc, s6, v4
	v_addc_co_u32_e32 v5, vcc, v13, v5, vcc
	v_add_u32_e32 v13, s33, v3
	global_store_dword v[4:5], v13, off
	v_mov_b32_e32 v13, v6
.LBB23_18:                              ;   in Loop: Header=BB23_7 Depth=1
	s_or_b64 exec, exec, s[20:21]
	ds_bpermute_b32 v14, v11, v3
	ds_bpermute_b32 v13, v11, v13
	v_cmp_lt_i32_e32 vcc, v9, v8
	s_and_saveexec_b64 s[20:21], vcc
	s_cbranch_execz .LBB23_6
; %bb.19:                               ;   in Loop: Header=BB23_7 Depth=1
	v_mad_u64_u32 v[3:4], s[22:23], s9, v9, v[2:3]
	s_waitcnt lgkmcnt(0)
	v_add_u32_e32 v5, v10, v13
	v_mul_lo_u32 v15, v5, s13
	v_mul_lo_u32 v16, v14, s13
	v_mad_u64_u32 v[3:4], s[22:23], s8, v3, v[1:2]
	s_mov_b64 s[22:23], 0
	v_mov_b32_e32 v4, v9
	s_branch .LBB23_21
.LBB23_20:                              ;   in Loop: Header=BB23_21 Depth=2
	s_or_b64 exec, exec, s[28:29]
	s_and_b64 s[24:25], exec, s[24:25]
	s_or_b64 s[22:23], s[24:25], s[22:23]
	s_andn2_b64 exec, exec, s[22:23]
	s_cbranch_execz .LBB23_6
.LBB23_21:                              ;   Parent Loop BB23_7 Depth=1
                                        ; =>  This Loop Header: Depth=2
                                        ;       Child Loop BB23_24 Depth 3
	s_mov_b64 s[24:25], -1
	s_and_b64 vcc, exec, s[2:3]
	s_mov_b64 s[26:27], -1
	s_cbranch_vccnz .LBB23_29
; %bb.22:                               ;   in Loop: Header=BB23_21 Depth=2
	v_ashrrev_i32_e32 v5, 31, v4
	v_lshlrev_b64 v[5:6], 2, v[4:5]
	v_mov_b32_e32 v17, s19
	v_add_co_u32_e32 v5, vcc, s18, v5
	v_addc_co_u32_e32 v6, vcc, v17, v6, vcc
	global_load_dword v5, v[5:6], off
	s_mov_b64 s[28:29], 0
	s_mov_b32 s41, s9
                                        ; implicit-def: $sgpr26_sgpr27
	s_waitcnt vmcnt(0)
	v_subrev_u32_e32 v5, s38, v5
	v_mul_lo_u32 v17, v5, s9
	v_mov_b32_e32 v5, v3
	s_branch .LBB23_24
.LBB23_23:                              ;   in Loop: Header=BB23_24 Depth=3
	s_or_b64 exec, exec, s[36:37]
	s_xor_b64 s[34:35], s[34:35], -1
	s_and_b64 s[30:31], exec, s[30:31]
	s_or_b64 s[28:29], s[30:31], s[28:29]
	s_andn2_b64 s[26:27], s[26:27], exec
	s_and_b64 s[30:31], s[34:35], exec
	s_or_b64 s[26:27], s[26:27], s[30:31]
	s_andn2_b64 exec, exec, s[28:29]
	s_cbranch_execz .LBB23_28
.LBB23_24:                              ;   Parent Loop BB23_7 Depth=1
                                        ;     Parent Loop BB23_21 Depth=2
                                        ; =>    This Inner Loop Header: Depth=3
	v_sub_u32_e32 v6, 0, v17
	v_max_i32_e32 v6, v17, v6
	v_mul_hi_u32 v18, v6, v12
	v_ashrrev_i32_e32 v20, 31, v17
	v_xor_b32_e32 v20, s39, v20
	v_mul_lo_u32 v19, v18, s10
	v_add_u32_e32 v21, 1, v18
	v_sub_u32_e32 v6, v6, v19
	v_cmp_le_u32_e32 vcc, s10, v6
	v_subrev_u32_e32 v19, s10, v6
	v_cndmask_b32_e32 v18, v18, v21, vcc
	v_cndmask_b32_e32 v6, v6, v19, vcc
	v_add_u32_e32 v19, 1, v18
	v_cmp_le_u32_e32 vcc, s10, v6
	v_cndmask_b32_e32 v6, v18, v19, vcc
	v_xor_b32_e32 v6, v6, v20
	v_sub_u32_e32 v18, v6, v20
	v_cmp_eq_u32_e32 vcc, v18, v14
	s_and_saveexec_b64 s[30:31], vcc
	s_cbranch_execz .LBB23_26
; %bb.25:                               ;   in Loop: Header=BB23_24 Depth=3
	v_ashrrev_i32_e32 v6, 31, v5
	v_lshlrev_b64 v[19:20], 3, v[5:6]
	v_mov_b32_e32 v6, s17
	v_add_co_u32_e32 v19, vcc, s16, v19
	v_addc_co_u32_e32 v20, vcc, v6, v20, vcc
	global_load_dwordx2 v[19:20], v[19:20], off
	v_sub_u32_e32 v6, v17, v16
	v_add_u32_e32 v6, v6, v15
	v_mad_u64_u32 v[21:22], s[34:35], v6, s12, v[0:1]
	v_mov_b32_e32 v6, s15
	v_ashrrev_i32_e32 v22, 31, v21
	v_lshlrev_b64 v[21:22], 3, v[21:22]
	v_add_co_u32_e32 v21, vcc, s14, v21
	v_addc_co_u32_e32 v22, vcc, v6, v22, vcc
	s_waitcnt vmcnt(0)
	global_store_dwordx2 v[21:22], v[19:20], off
.LBB23_26:                              ;   in Loop: Header=BB23_24 Depth=3
	s_or_b64 exec, exec, s[30:31]
	v_cmp_le_i32_e32 vcc, v18, v14
	s_mov_b64 s[30:31], -1
	s_mov_b64 s[34:35], -1
	s_and_saveexec_b64 s[36:37], vcc
	s_cbranch_execz .LBB23_23
; %bb.27:                               ;   in Loop: Header=BB23_24 Depth=3
	s_add_i32 s41, s41, -1
	s_cmp_eq_u32 s41, 0
	s_cselect_b64 s[30:31], -1, 0
	v_add_u32_e32 v17, 1, v17
	v_add_u32_e32 v5, s8, v5
	s_xor_b64 s[34:35], exec, -1
	s_orn2_b64 s[30:31], s[30:31], exec
	s_branch .LBB23_23
.LBB23_28:                              ;   in Loop: Header=BB23_21 Depth=2
	s_or_b64 exec, exec, s[28:29]
.LBB23_29:                              ;   in Loop: Header=BB23_21 Depth=2
	s_and_saveexec_b64 s[28:29], s[26:27]
	s_cbranch_execz .LBB23_20
; %bb.30:                               ;   in Loop: Header=BB23_21 Depth=2
	v_add_u32_e32 v4, 1, v4
	v_cmp_ge_i32_e32 vcc, v4, v8
	v_add_u32_e32 v3, s40, v3
	s_orn2_b64 s[24:25], vcc, exec
	s_branch .LBB23_20
.LBB23_31:
	s_endpgm
	.section	.rodata,"a",@progbits
	.p2align	6, 0x0
	.amdhsa_kernel _ZN9rocsparseL23gebsr2gebsr_fast_kernelIL20rocsparse_direction_1ELi16ELi2EdEEvii21rocsparse_index_base_PKT2_PKiS7_iiiiS2_PS3_PiS9_ii
		.amdhsa_group_segment_fixed_size 0
		.amdhsa_private_segment_fixed_size 0
		.amdhsa_kernarg_size 96
		.amdhsa_user_sgpr_count 6
		.amdhsa_user_sgpr_private_segment_buffer 1
		.amdhsa_user_sgpr_dispatch_ptr 0
		.amdhsa_user_sgpr_queue_ptr 0
		.amdhsa_user_sgpr_kernarg_segment_ptr 1
		.amdhsa_user_sgpr_dispatch_id 0
		.amdhsa_user_sgpr_flat_scratch_init 0
		.amdhsa_user_sgpr_private_segment_size 0
		.amdhsa_uses_dynamic_stack 0
		.amdhsa_system_sgpr_private_segment_wavefront_offset 0
		.amdhsa_system_sgpr_workgroup_id_x 1
		.amdhsa_system_sgpr_workgroup_id_y 0
		.amdhsa_system_sgpr_workgroup_id_z 0
		.amdhsa_system_sgpr_workgroup_info 0
		.amdhsa_system_vgpr_workitem_id 0
		.amdhsa_next_free_vgpr 23
		.amdhsa_next_free_sgpr 42
		.amdhsa_reserve_vcc 1
		.amdhsa_reserve_flat_scratch 0
		.amdhsa_float_round_mode_32 0
		.amdhsa_float_round_mode_16_64 0
		.amdhsa_float_denorm_mode_32 3
		.amdhsa_float_denorm_mode_16_64 3
		.amdhsa_dx10_clamp 1
		.amdhsa_ieee_mode 1
		.amdhsa_fp16_overflow 0
		.amdhsa_exception_fp_ieee_invalid_op 0
		.amdhsa_exception_fp_denorm_src 0
		.amdhsa_exception_fp_ieee_div_zero 0
		.amdhsa_exception_fp_ieee_overflow 0
		.amdhsa_exception_fp_ieee_underflow 0
		.amdhsa_exception_fp_ieee_inexact 0
		.amdhsa_exception_int_div_zero 0
	.end_amdhsa_kernel
	.section	.text._ZN9rocsparseL23gebsr2gebsr_fast_kernelIL20rocsparse_direction_1ELi16ELi2EdEEvii21rocsparse_index_base_PKT2_PKiS7_iiiiS2_PS3_PiS9_ii,"axG",@progbits,_ZN9rocsparseL23gebsr2gebsr_fast_kernelIL20rocsparse_direction_1ELi16ELi2EdEEvii21rocsparse_index_base_PKT2_PKiS7_iiiiS2_PS3_PiS9_ii,comdat
.Lfunc_end23:
	.size	_ZN9rocsparseL23gebsr2gebsr_fast_kernelIL20rocsparse_direction_1ELi16ELi2EdEEvii21rocsparse_index_base_PKT2_PKiS7_iiiiS2_PS3_PiS9_ii, .Lfunc_end23-_ZN9rocsparseL23gebsr2gebsr_fast_kernelIL20rocsparse_direction_1ELi16ELi2EdEEvii21rocsparse_index_base_PKT2_PKiS7_iiiiS2_PS3_PiS9_ii
                                        ; -- End function
	.set _ZN9rocsparseL23gebsr2gebsr_fast_kernelIL20rocsparse_direction_1ELi16ELi2EdEEvii21rocsparse_index_base_PKT2_PKiS7_iiiiS2_PS3_PiS9_ii.num_vgpr, 23
	.set _ZN9rocsparseL23gebsr2gebsr_fast_kernelIL20rocsparse_direction_1ELi16ELi2EdEEvii21rocsparse_index_base_PKT2_PKiS7_iiiiS2_PS3_PiS9_ii.num_agpr, 0
	.set _ZN9rocsparseL23gebsr2gebsr_fast_kernelIL20rocsparse_direction_1ELi16ELi2EdEEvii21rocsparse_index_base_PKT2_PKiS7_iiiiS2_PS3_PiS9_ii.numbered_sgpr, 42
	.set _ZN9rocsparseL23gebsr2gebsr_fast_kernelIL20rocsparse_direction_1ELi16ELi2EdEEvii21rocsparse_index_base_PKT2_PKiS7_iiiiS2_PS3_PiS9_ii.num_named_barrier, 0
	.set _ZN9rocsparseL23gebsr2gebsr_fast_kernelIL20rocsparse_direction_1ELi16ELi2EdEEvii21rocsparse_index_base_PKT2_PKiS7_iiiiS2_PS3_PiS9_ii.private_seg_size, 0
	.set _ZN9rocsparseL23gebsr2gebsr_fast_kernelIL20rocsparse_direction_1ELi16ELi2EdEEvii21rocsparse_index_base_PKT2_PKiS7_iiiiS2_PS3_PiS9_ii.uses_vcc, 1
	.set _ZN9rocsparseL23gebsr2gebsr_fast_kernelIL20rocsparse_direction_1ELi16ELi2EdEEvii21rocsparse_index_base_PKT2_PKiS7_iiiiS2_PS3_PiS9_ii.uses_flat_scratch, 0
	.set _ZN9rocsparseL23gebsr2gebsr_fast_kernelIL20rocsparse_direction_1ELi16ELi2EdEEvii21rocsparse_index_base_PKT2_PKiS7_iiiiS2_PS3_PiS9_ii.has_dyn_sized_stack, 0
	.set _ZN9rocsparseL23gebsr2gebsr_fast_kernelIL20rocsparse_direction_1ELi16ELi2EdEEvii21rocsparse_index_base_PKT2_PKiS7_iiiiS2_PS3_PiS9_ii.has_recursion, 0
	.set _ZN9rocsparseL23gebsr2gebsr_fast_kernelIL20rocsparse_direction_1ELi16ELi2EdEEvii21rocsparse_index_base_PKT2_PKiS7_iiiiS2_PS3_PiS9_ii.has_indirect_call, 0
	.section	.AMDGPU.csdata,"",@progbits
; Kernel info:
; codeLenInByte = 1484
; TotalNumSgprs: 46
; NumVgprs: 23
; ScratchSize: 0
; MemoryBound: 0
; FloatMode: 240
; IeeeMode: 1
; LDSByteSize: 0 bytes/workgroup (compile time only)
; SGPRBlocks: 5
; VGPRBlocks: 5
; NumSGPRsForWavesPerEU: 46
; NumVGPRsForWavesPerEU: 23
; Occupancy: 10
; WaveLimiterHint : 0
; COMPUTE_PGM_RSRC2:SCRATCH_EN: 0
; COMPUTE_PGM_RSRC2:USER_SGPR: 6
; COMPUTE_PGM_RSRC2:TRAP_HANDLER: 0
; COMPUTE_PGM_RSRC2:TGID_X_EN: 1
; COMPUTE_PGM_RSRC2:TGID_Y_EN: 0
; COMPUTE_PGM_RSRC2:TGID_Z_EN: 0
; COMPUTE_PGM_RSRC2:TIDIG_COMP_CNT: 0
	.section	.text._ZN9rocsparseL23gebsr2gebsr_fast_kernelIL20rocsparse_direction_1ELi16ELi4EdEEvii21rocsparse_index_base_PKT2_PKiS7_iiiiS2_PS3_PiS9_ii,"axG",@progbits,_ZN9rocsparseL23gebsr2gebsr_fast_kernelIL20rocsparse_direction_1ELi16ELi4EdEEvii21rocsparse_index_base_PKT2_PKiS7_iiiiS2_PS3_PiS9_ii,comdat
	.globl	_ZN9rocsparseL23gebsr2gebsr_fast_kernelIL20rocsparse_direction_1ELi16ELi4EdEEvii21rocsparse_index_base_PKT2_PKiS7_iiiiS2_PS3_PiS9_ii ; -- Begin function _ZN9rocsparseL23gebsr2gebsr_fast_kernelIL20rocsparse_direction_1ELi16ELi4EdEEvii21rocsparse_index_base_PKT2_PKiS7_iiiiS2_PS3_PiS9_ii
	.p2align	8
	.type	_ZN9rocsparseL23gebsr2gebsr_fast_kernelIL20rocsparse_direction_1ELi16ELi4EdEEvii21rocsparse_index_base_PKT2_PKiS7_iiiiS2_PS3_PiS9_ii,@function
_ZN9rocsparseL23gebsr2gebsr_fast_kernelIL20rocsparse_direction_1ELi16ELi4EdEEvii21rocsparse_index_base_PKT2_PKiS7_iiiiS2_PS3_PiS9_ii: ; @_ZN9rocsparseL23gebsr2gebsr_fast_kernelIL20rocsparse_direction_1ELi16ELi4EdEEvii21rocsparse_index_base_PKT2_PKiS7_iiiiS2_PS3_PiS9_ii
; %bb.0:
	s_load_dwordx4 s[8:11], s[4:5], 0x28
	s_load_dword s33, s[4:5], 0x38
	s_load_dwordx2 s[12:13], s[4:5], 0x58
	v_lshrrev_b32_e32 v4, 2, v0
	s_lshl_b32 s2, s6, 2
	s_waitcnt lgkmcnt(0)
	s_abs_i32 s3, s8
	v_cvt_f32_u32_e32 v1, s3
	s_sub_i32 s0, 0, s3
	v_and_b32_e32 v0, 3, v0
	s_load_dword s6, s[4:5], 0x0
	s_load_dword s38, s[4:5], 0x8
	v_rcp_iflag_f32_e32 v1, v1
	v_cmp_gt_i32_e32 vcc, s12, v0
	v_mov_b32_e32 v7, 0
	v_mov_b32_e32 v8, 0
	v_mul_f32_e32 v1, 0x4f7ffffe, v1
	v_cvt_u32_f32_e32 v5, v1
	v_or_b32_e32 v1, s2, v4
	v_mul_lo_u32 v6, s0, v5
	v_mad_u64_u32 v[2:3], s[0:1], v1, s12, v[0:1]
	v_mul_hi_u32 v3, v5, v6
	v_sub_u32_e32 v6, 0, v2
	v_max_i32_e32 v6, v2, v6
	v_xor_b32_e32 v2, s8, v2
	v_add_u32_e32 v3, v5, v3
	v_mul_hi_u32 v3, v6, v3
	v_ashrrev_i32_e32 v5, 31, v2
	v_mul_lo_u32 v9, v3, s3
	v_add_u32_e32 v2, 1, v3
	v_sub_u32_e32 v6, v6, v9
	v_cmp_le_u32_e64 s[0:1], s3, v6
	v_cndmask_b32_e64 v2, v3, v2, s[0:1]
	v_subrev_u32_e32 v3, s3, v6
	v_cndmask_b32_e64 v3, v6, v3, s[0:1]
	v_add_u32_e32 v6, 1, v2
	v_cmp_le_u32_e64 s[0:1], s3, v3
	v_cndmask_b32_e64 v2, v2, v6, s[0:1]
	v_xor_b32_e32 v6, v2, v5
	v_sub_u32_e32 v2, v6, v5
	s_waitcnt lgkmcnt(0)
	v_cmp_gt_i32_e64 s[0:1], s6, v2
	s_and_b64 s[6:7], vcc, s[0:1]
	v_mov_b32_e32 v9, 0
	s_and_saveexec_b64 s[0:1], s[6:7]
	s_cbranch_execnz .LBB24_3
; %bb.1:
	s_or_b64 exec, exec, s[0:1]
	v_cmp_gt_i32_e32 vcc, s10, v1
	s_and_saveexec_b64 s[0:1], vcc
	s_cbranch_execnz .LBB24_4
.LBB24_2:
	s_or_b64 exec, exec, s[0:1]
	s_cmp_lt_i32 s11, 1
	s_cbranch_scc0 .LBB24_5
	s_branch .LBB24_31
.LBB24_3:
	s_load_dwordx2 s[6:7], s[4:5], 0x18
	v_ashrrev_i32_e32 v3, 31, v2
	v_lshlrev_b64 v[2:3], 2, v[2:3]
	s_waitcnt lgkmcnt(0)
	v_mov_b32_e32 v8, s7
	v_add_co_u32_e32 v2, vcc, s6, v2
	v_addc_co_u32_e32 v3, vcc, v8, v3, vcc
	global_load_dwordx2 v[2:3], v[2:3], off
	s_waitcnt vmcnt(0)
	v_subrev_u32_e32 v9, s38, v2
	v_subrev_u32_e32 v8, s38, v3
	s_or_b64 exec, exec, s[0:1]
	v_cmp_gt_i32_e32 vcc, s10, v1
	s_and_saveexec_b64 s[0:1], vcc
	s_cbranch_execz .LBB24_2
.LBB24_4:
	s_load_dwordx2 s[6:7], s[4:5], 0x48
	v_ashrrev_i32_e32 v2, 31, v1
	v_lshlrev_b64 v[1:2], 2, v[1:2]
	s_waitcnt lgkmcnt(0)
	v_mov_b32_e32 v3, s7
	v_add_co_u32_e32 v1, vcc, s6, v1
	v_addc_co_u32_e32 v2, vcc, v3, v2, vcc
	global_load_dword v1, v[1:2], off
	s_waitcnt vmcnt(0)
	v_subrev_u32_e32 v7, s33, v1
	s_or_b64 exec, exec, s[0:1]
	s_cmp_lt_i32 s11, 1
	s_cbranch_scc1 .LBB24_31
.LBB24_5:
	s_cmp_gt_i32 s9, 0
	s_cselect_b64 s[20:21], -1, 0
	s_abs_i32 s10, s13
	v_cvt_f32_u32_e32 v1, s10
	s_sub_i32 s3, 0, s10
	s_load_dwordx2 s[6:7], s[4:5], 0x50
	s_load_dwordx2 s[14:15], s[4:5], 0x40
	;; [unrolled: 1-line block ×4, first 2 shown]
	v_add_u32_e32 v4, s2, v4
	v_rcp_iflag_f32_e32 v1, v1
	v_cmp_eq_u32_e64 s[0:1], 3, v0
	v_add_u32_e32 v10, -1, v7
	s_ashr_i32 s39, s13, 31
	v_mul_f32_e32 v1, 0x4f7ffffe, v1
	v_cvt_u32_f32_e32 v3, v1
	v_mbcnt_lo_u32_b32 v1, -1, 0
	v_mbcnt_hi_u32_b32 v11, -1, v1
	v_lshl_or_b32 v11, v11, 2, 12
	v_mul_lo_u32 v2, s3, v3
	s_mul_i32 s40, s9, s8
	s_mov_b64 s[4:5], 0
	v_mov_b32_e32 v13, 0
	v_mul_hi_u32 v12, v3, v2
	v_mad_u64_u32 v[1:2], s[2:3], s12, v4, v[0:1]
	v_sub_u32_e32 v2, v5, v6
	v_add_u32_e32 v12, v3, v12
	v_cndmask_b32_e64 v3, 0, 1, s[20:21]
	v_mov_b32_e32 v5, 0
	v_cmp_ne_u32_e64 s[2:3], 1, v3
	s_branch .LBB24_7
.LBB24_6:                               ;   in Loop: Header=BB24_7 Depth=1
	s_or_b64 exec, exec, s[20:21]
	s_waitcnt lgkmcnt(0)
	v_add_u32_e32 v5, 1, v14
	v_cmp_le_i32_e32 vcc, s11, v5
	s_or_b64 s[4:5], vcc, s[4:5]
	s_andn2_b64 exec, exec, s[4:5]
	s_cbranch_execz .LBB24_31
.LBB24_7:                               ; =>This Loop Header: Depth=1
                                        ;     Child Loop BB24_11 Depth 2
                                        ;       Child Loop BB24_13 Depth 3
                                        ;     Child Loop BB24_21 Depth 2
                                        ;       Child Loop BB24_24 Depth 3
	v_cmp_lt_i32_e32 vcc, v9, v8
	v_mov_b32_e32 v6, s11
	s_and_saveexec_b64 s[20:21], vcc
	s_cbranch_execz .LBB24_16
; %bb.8:                                ;   in Loop: Header=BB24_7 Depth=1
	s_mov_b64 s[22:23], 0
	v_mov_b32_e32 v6, s11
	v_mov_b32_e32 v3, v9
	s_branch .LBB24_11
.LBB24_9:                               ;   in Loop: Header=BB24_11 Depth=2
	s_mov_b64 s[24:25], 0
.LBB24_10:                              ;   in Loop: Header=BB24_11 Depth=2
	v_add_u32_e32 v3, 1, v3
	v_cmp_ge_i32_e32 vcc, v3, v8
	s_or_b64 s[24:25], s[24:25], vcc
	s_and_b64 s[24:25], exec, s[24:25]
	s_or_b64 s[22:23], s[24:25], s[22:23]
	s_andn2_b64 exec, exec, s[22:23]
	s_cbranch_execz .LBB24_15
.LBB24_11:                              ;   Parent Loop BB24_7 Depth=1
                                        ; =>  This Loop Header: Depth=2
                                        ;       Child Loop BB24_13 Depth 3
	s_and_b64 vcc, exec, s[2:3]
	s_cbranch_vccnz .LBB24_9
; %bb.12:                               ;   in Loop: Header=BB24_11 Depth=2
	v_ashrrev_i32_e32 v4, 31, v3
	v_lshlrev_b64 v[14:15], 2, v[3:4]
	s_waitcnt lgkmcnt(0)
	v_mov_b32_e32 v4, s19
	v_add_co_u32_e32 v14, vcc, s18, v14
	v_addc_co_u32_e32 v15, vcc, v4, v15, vcc
	global_load_dword v4, v[14:15], off
	s_mov_b32 s30, 0
	s_mov_b64 s[28:29], 0
	s_mov_b64 s[26:27], 0
                                        ; implicit-def: $sgpr24_sgpr25
	s_waitcnt vmcnt(0)
	v_subrev_u32_e32 v4, s38, v4
	v_mul_lo_u32 v4, v4, s9
.LBB24_13:                              ;   Parent Loop BB24_7 Depth=1
                                        ;     Parent Loop BB24_11 Depth=2
                                        ; =>    This Inner Loop Header: Depth=3
	v_add_u32_e32 v14, s30, v4
	v_sub_u32_e32 v16, 0, v14
	v_ashrrev_i32_e32 v15, 31, v14
	v_max_i32_e32 v14, v14, v16
	v_mul_hi_u32 v16, v14, v12
	v_xor_b32_e32 v15, s39, v15
	s_add_i32 s30, s30, 1
	v_mul_lo_u32 v17, v16, s10
	v_add_u32_e32 v18, 1, v16
	v_sub_u32_e32 v14, v14, v17
	v_cmp_le_u32_e32 vcc, s10, v14
	v_subrev_u32_e32 v17, s10, v14
	v_cndmask_b32_e32 v16, v16, v18, vcc
	v_cndmask_b32_e32 v14, v14, v17, vcc
	v_add_u32_e32 v17, 1, v16
	v_cmp_le_u32_e32 vcc, s10, v14
	v_cndmask_b32_e32 v14, v16, v17, vcc
	v_xor_b32_e32 v14, v14, v15
	v_sub_u32_e32 v14, v14, v15
	v_cmp_ge_i32_e32 vcc, v14, v5
	s_or_b64 s[28:29], vcc, s[28:29]
	s_cmp_ge_i32 s30, s9
	s_cselect_b64 s[34:35], -1, 0
	s_or_b64 s[34:35], vcc, s[34:35]
	s_and_b64 s[34:35], exec, s[34:35]
	s_or_b64 s[26:27], s[34:35], s[26:27]
	s_andn2_b64 s[24:25], s[24:25], exec
	s_and_b64 s[34:35], s[28:29], exec
	v_cndmask_b32_e32 v6, v6, v14, vcc
	v_cndmask_b32_e32 v9, v9, v3, vcc
	s_or_b64 s[24:25], s[24:25], s[34:35]
	s_andn2_b64 exec, exec, s[26:27]
	s_cbranch_execnz .LBB24_13
; %bb.14:                               ;   in Loop: Header=BB24_11 Depth=2
	s_or_b64 exec, exec, s[26:27]
	s_branch .LBB24_10
.LBB24_15:                              ;   in Loop: Header=BB24_7 Depth=1
	s_or_b64 exec, exec, s[22:23]
.LBB24_16:                              ;   in Loop: Header=BB24_7 Depth=1
	s_or_b64 exec, exec, s[20:21]
	v_mov_b32_dpp v3, v6 row_shr:1 row_mask:0xf bank_mask:0xf
	v_min_i32_e32 v3, v3, v6
	s_nop 1
	v_mov_b32_dpp v4, v3 row_shr:2 row_mask:0xf bank_mask:0xf
	v_min_i32_e32 v3, v4, v3
	v_cmp_gt_i32_e32 vcc, s11, v3
	s_and_b64 s[22:23], s[0:1], vcc
	s_and_saveexec_b64 s[20:21], s[22:23]
	s_cbranch_execz .LBB24_18
; %bb.17:                               ;   in Loop: Header=BB24_7 Depth=1
	v_add_u32_e32 v4, v13, v7
	v_ashrrev_i32_e32 v5, 31, v4
	v_lshlrev_b64 v[4:5], 2, v[4:5]
	v_add_u32_e32 v6, 1, v13
	s_waitcnt lgkmcnt(0)
	v_mov_b32_e32 v13, s7
	v_add_co_u32_e32 v4, vcc, s6, v4
	v_addc_co_u32_e32 v5, vcc, v13, v5, vcc
	v_add_u32_e32 v13, s33, v3
	global_store_dword v[4:5], v13, off
	v_mov_b32_e32 v13, v6
.LBB24_18:                              ;   in Loop: Header=BB24_7 Depth=1
	s_or_b64 exec, exec, s[20:21]
	ds_bpermute_b32 v14, v11, v3
	ds_bpermute_b32 v13, v11, v13
	v_cmp_lt_i32_e32 vcc, v9, v8
	s_and_saveexec_b64 s[20:21], vcc
	s_cbranch_execz .LBB24_6
; %bb.19:                               ;   in Loop: Header=BB24_7 Depth=1
	v_mad_u64_u32 v[3:4], s[22:23], s9, v9, v[2:3]
	s_waitcnt lgkmcnt(0)
	v_add_u32_e32 v5, v10, v13
	v_mul_lo_u32 v15, v5, s13
	v_mul_lo_u32 v16, v14, s13
	v_mad_u64_u32 v[3:4], s[22:23], s8, v3, v[1:2]
	s_mov_b64 s[22:23], 0
	v_mov_b32_e32 v4, v9
	s_branch .LBB24_21
.LBB24_20:                              ;   in Loop: Header=BB24_21 Depth=2
	s_or_b64 exec, exec, s[28:29]
	s_and_b64 s[24:25], exec, s[24:25]
	s_or_b64 s[22:23], s[24:25], s[22:23]
	s_andn2_b64 exec, exec, s[22:23]
	s_cbranch_execz .LBB24_6
.LBB24_21:                              ;   Parent Loop BB24_7 Depth=1
                                        ; =>  This Loop Header: Depth=2
                                        ;       Child Loop BB24_24 Depth 3
	s_mov_b64 s[24:25], -1
	s_and_b64 vcc, exec, s[2:3]
	s_mov_b64 s[26:27], -1
	s_cbranch_vccnz .LBB24_29
; %bb.22:                               ;   in Loop: Header=BB24_21 Depth=2
	v_ashrrev_i32_e32 v5, 31, v4
	v_lshlrev_b64 v[5:6], 2, v[4:5]
	v_mov_b32_e32 v17, s19
	v_add_co_u32_e32 v5, vcc, s18, v5
	v_addc_co_u32_e32 v6, vcc, v17, v6, vcc
	global_load_dword v5, v[5:6], off
	s_mov_b64 s[28:29], 0
	s_mov_b32 s41, s9
                                        ; implicit-def: $sgpr26_sgpr27
	s_waitcnt vmcnt(0)
	v_subrev_u32_e32 v5, s38, v5
	v_mul_lo_u32 v17, v5, s9
	v_mov_b32_e32 v5, v3
	s_branch .LBB24_24
.LBB24_23:                              ;   in Loop: Header=BB24_24 Depth=3
	s_or_b64 exec, exec, s[36:37]
	s_xor_b64 s[34:35], s[34:35], -1
	s_and_b64 s[30:31], exec, s[30:31]
	s_or_b64 s[28:29], s[30:31], s[28:29]
	s_andn2_b64 s[26:27], s[26:27], exec
	s_and_b64 s[30:31], s[34:35], exec
	s_or_b64 s[26:27], s[26:27], s[30:31]
	s_andn2_b64 exec, exec, s[28:29]
	s_cbranch_execz .LBB24_28
.LBB24_24:                              ;   Parent Loop BB24_7 Depth=1
                                        ;     Parent Loop BB24_21 Depth=2
                                        ; =>    This Inner Loop Header: Depth=3
	v_sub_u32_e32 v6, 0, v17
	v_max_i32_e32 v6, v17, v6
	v_mul_hi_u32 v18, v6, v12
	v_ashrrev_i32_e32 v20, 31, v17
	v_xor_b32_e32 v20, s39, v20
	v_mul_lo_u32 v19, v18, s10
	v_add_u32_e32 v21, 1, v18
	v_sub_u32_e32 v6, v6, v19
	v_cmp_le_u32_e32 vcc, s10, v6
	v_subrev_u32_e32 v19, s10, v6
	v_cndmask_b32_e32 v18, v18, v21, vcc
	v_cndmask_b32_e32 v6, v6, v19, vcc
	v_add_u32_e32 v19, 1, v18
	v_cmp_le_u32_e32 vcc, s10, v6
	v_cndmask_b32_e32 v6, v18, v19, vcc
	v_xor_b32_e32 v6, v6, v20
	v_sub_u32_e32 v18, v6, v20
	v_cmp_eq_u32_e32 vcc, v18, v14
	s_and_saveexec_b64 s[30:31], vcc
	s_cbranch_execz .LBB24_26
; %bb.25:                               ;   in Loop: Header=BB24_24 Depth=3
	v_ashrrev_i32_e32 v6, 31, v5
	v_lshlrev_b64 v[19:20], 3, v[5:6]
	v_mov_b32_e32 v6, s17
	v_add_co_u32_e32 v19, vcc, s16, v19
	v_addc_co_u32_e32 v20, vcc, v6, v20, vcc
	global_load_dwordx2 v[19:20], v[19:20], off
	v_sub_u32_e32 v6, v17, v16
	v_add_u32_e32 v6, v6, v15
	v_mad_u64_u32 v[21:22], s[34:35], v6, s12, v[0:1]
	v_mov_b32_e32 v6, s15
	v_ashrrev_i32_e32 v22, 31, v21
	v_lshlrev_b64 v[21:22], 3, v[21:22]
	v_add_co_u32_e32 v21, vcc, s14, v21
	v_addc_co_u32_e32 v22, vcc, v6, v22, vcc
	s_waitcnt vmcnt(0)
	global_store_dwordx2 v[21:22], v[19:20], off
.LBB24_26:                              ;   in Loop: Header=BB24_24 Depth=3
	s_or_b64 exec, exec, s[30:31]
	v_cmp_le_i32_e32 vcc, v18, v14
	s_mov_b64 s[30:31], -1
	s_mov_b64 s[34:35], -1
	s_and_saveexec_b64 s[36:37], vcc
	s_cbranch_execz .LBB24_23
; %bb.27:                               ;   in Loop: Header=BB24_24 Depth=3
	s_add_i32 s41, s41, -1
	s_cmp_eq_u32 s41, 0
	s_cselect_b64 s[30:31], -1, 0
	v_add_u32_e32 v17, 1, v17
	v_add_u32_e32 v5, s8, v5
	s_xor_b64 s[34:35], exec, -1
	s_orn2_b64 s[30:31], s[30:31], exec
	s_branch .LBB24_23
.LBB24_28:                              ;   in Loop: Header=BB24_21 Depth=2
	s_or_b64 exec, exec, s[28:29]
.LBB24_29:                              ;   in Loop: Header=BB24_21 Depth=2
	s_and_saveexec_b64 s[28:29], s[26:27]
	s_cbranch_execz .LBB24_20
; %bb.30:                               ;   in Loop: Header=BB24_21 Depth=2
	v_add_u32_e32 v4, 1, v4
	v_cmp_ge_i32_e32 vcc, v4, v8
	v_add_u32_e32 v3, s40, v3
	s_orn2_b64 s[24:25], vcc, exec
	s_branch .LBB24_20
.LBB24_31:
	s_endpgm
	.section	.rodata,"a",@progbits
	.p2align	6, 0x0
	.amdhsa_kernel _ZN9rocsparseL23gebsr2gebsr_fast_kernelIL20rocsparse_direction_1ELi16ELi4EdEEvii21rocsparse_index_base_PKT2_PKiS7_iiiiS2_PS3_PiS9_ii
		.amdhsa_group_segment_fixed_size 0
		.amdhsa_private_segment_fixed_size 0
		.amdhsa_kernarg_size 96
		.amdhsa_user_sgpr_count 6
		.amdhsa_user_sgpr_private_segment_buffer 1
		.amdhsa_user_sgpr_dispatch_ptr 0
		.amdhsa_user_sgpr_queue_ptr 0
		.amdhsa_user_sgpr_kernarg_segment_ptr 1
		.amdhsa_user_sgpr_dispatch_id 0
		.amdhsa_user_sgpr_flat_scratch_init 0
		.amdhsa_user_sgpr_private_segment_size 0
		.amdhsa_uses_dynamic_stack 0
		.amdhsa_system_sgpr_private_segment_wavefront_offset 0
		.amdhsa_system_sgpr_workgroup_id_x 1
		.amdhsa_system_sgpr_workgroup_id_y 0
		.amdhsa_system_sgpr_workgroup_id_z 0
		.amdhsa_system_sgpr_workgroup_info 0
		.amdhsa_system_vgpr_workitem_id 0
		.amdhsa_next_free_vgpr 23
		.amdhsa_next_free_sgpr 42
		.amdhsa_reserve_vcc 1
		.amdhsa_reserve_flat_scratch 0
		.amdhsa_float_round_mode_32 0
		.amdhsa_float_round_mode_16_64 0
		.amdhsa_float_denorm_mode_32 3
		.amdhsa_float_denorm_mode_16_64 3
		.amdhsa_dx10_clamp 1
		.amdhsa_ieee_mode 1
		.amdhsa_fp16_overflow 0
		.amdhsa_exception_fp_ieee_invalid_op 0
		.amdhsa_exception_fp_denorm_src 0
		.amdhsa_exception_fp_ieee_div_zero 0
		.amdhsa_exception_fp_ieee_overflow 0
		.amdhsa_exception_fp_ieee_underflow 0
		.amdhsa_exception_fp_ieee_inexact 0
		.amdhsa_exception_int_div_zero 0
	.end_amdhsa_kernel
	.section	.text._ZN9rocsparseL23gebsr2gebsr_fast_kernelIL20rocsparse_direction_1ELi16ELi4EdEEvii21rocsparse_index_base_PKT2_PKiS7_iiiiS2_PS3_PiS9_ii,"axG",@progbits,_ZN9rocsparseL23gebsr2gebsr_fast_kernelIL20rocsparse_direction_1ELi16ELi4EdEEvii21rocsparse_index_base_PKT2_PKiS7_iiiiS2_PS3_PiS9_ii,comdat
.Lfunc_end24:
	.size	_ZN9rocsparseL23gebsr2gebsr_fast_kernelIL20rocsparse_direction_1ELi16ELi4EdEEvii21rocsparse_index_base_PKT2_PKiS7_iiiiS2_PS3_PiS9_ii, .Lfunc_end24-_ZN9rocsparseL23gebsr2gebsr_fast_kernelIL20rocsparse_direction_1ELi16ELi4EdEEvii21rocsparse_index_base_PKT2_PKiS7_iiiiS2_PS3_PiS9_ii
                                        ; -- End function
	.set _ZN9rocsparseL23gebsr2gebsr_fast_kernelIL20rocsparse_direction_1ELi16ELi4EdEEvii21rocsparse_index_base_PKT2_PKiS7_iiiiS2_PS3_PiS9_ii.num_vgpr, 23
	.set _ZN9rocsparseL23gebsr2gebsr_fast_kernelIL20rocsparse_direction_1ELi16ELi4EdEEvii21rocsparse_index_base_PKT2_PKiS7_iiiiS2_PS3_PiS9_ii.num_agpr, 0
	.set _ZN9rocsparseL23gebsr2gebsr_fast_kernelIL20rocsparse_direction_1ELi16ELi4EdEEvii21rocsparse_index_base_PKT2_PKiS7_iiiiS2_PS3_PiS9_ii.numbered_sgpr, 42
	.set _ZN9rocsparseL23gebsr2gebsr_fast_kernelIL20rocsparse_direction_1ELi16ELi4EdEEvii21rocsparse_index_base_PKT2_PKiS7_iiiiS2_PS3_PiS9_ii.num_named_barrier, 0
	.set _ZN9rocsparseL23gebsr2gebsr_fast_kernelIL20rocsparse_direction_1ELi16ELi4EdEEvii21rocsparse_index_base_PKT2_PKiS7_iiiiS2_PS3_PiS9_ii.private_seg_size, 0
	.set _ZN9rocsparseL23gebsr2gebsr_fast_kernelIL20rocsparse_direction_1ELi16ELi4EdEEvii21rocsparse_index_base_PKT2_PKiS7_iiiiS2_PS3_PiS9_ii.uses_vcc, 1
	.set _ZN9rocsparseL23gebsr2gebsr_fast_kernelIL20rocsparse_direction_1ELi16ELi4EdEEvii21rocsparse_index_base_PKT2_PKiS7_iiiiS2_PS3_PiS9_ii.uses_flat_scratch, 0
	.set _ZN9rocsparseL23gebsr2gebsr_fast_kernelIL20rocsparse_direction_1ELi16ELi4EdEEvii21rocsparse_index_base_PKT2_PKiS7_iiiiS2_PS3_PiS9_ii.has_dyn_sized_stack, 0
	.set _ZN9rocsparseL23gebsr2gebsr_fast_kernelIL20rocsparse_direction_1ELi16ELi4EdEEvii21rocsparse_index_base_PKT2_PKiS7_iiiiS2_PS3_PiS9_ii.has_recursion, 0
	.set _ZN9rocsparseL23gebsr2gebsr_fast_kernelIL20rocsparse_direction_1ELi16ELi4EdEEvii21rocsparse_index_base_PKT2_PKiS7_iiiiS2_PS3_PiS9_ii.has_indirect_call, 0
	.section	.AMDGPU.csdata,"",@progbits
; Kernel info:
; codeLenInByte = 1500
; TotalNumSgprs: 46
; NumVgprs: 23
; ScratchSize: 0
; MemoryBound: 0
; FloatMode: 240
; IeeeMode: 1
; LDSByteSize: 0 bytes/workgroup (compile time only)
; SGPRBlocks: 5
; VGPRBlocks: 5
; NumSGPRsForWavesPerEU: 46
; NumVGPRsForWavesPerEU: 23
; Occupancy: 10
; WaveLimiterHint : 0
; COMPUTE_PGM_RSRC2:SCRATCH_EN: 0
; COMPUTE_PGM_RSRC2:USER_SGPR: 6
; COMPUTE_PGM_RSRC2:TRAP_HANDLER: 0
; COMPUTE_PGM_RSRC2:TGID_X_EN: 1
; COMPUTE_PGM_RSRC2:TGID_Y_EN: 0
; COMPUTE_PGM_RSRC2:TGID_Z_EN: 0
; COMPUTE_PGM_RSRC2:TIDIG_COMP_CNT: 0
	.section	.text._ZN9rocsparseL23gebsr2gebsr_fast_kernelIL20rocsparse_direction_1ELi16ELi8EdEEvii21rocsparse_index_base_PKT2_PKiS7_iiiiS2_PS3_PiS9_ii,"axG",@progbits,_ZN9rocsparseL23gebsr2gebsr_fast_kernelIL20rocsparse_direction_1ELi16ELi8EdEEvii21rocsparse_index_base_PKT2_PKiS7_iiiiS2_PS3_PiS9_ii,comdat
	.globl	_ZN9rocsparseL23gebsr2gebsr_fast_kernelIL20rocsparse_direction_1ELi16ELi8EdEEvii21rocsparse_index_base_PKT2_PKiS7_iiiiS2_PS3_PiS9_ii ; -- Begin function _ZN9rocsparseL23gebsr2gebsr_fast_kernelIL20rocsparse_direction_1ELi16ELi8EdEEvii21rocsparse_index_base_PKT2_PKiS7_iiiiS2_PS3_PiS9_ii
	.p2align	8
	.type	_ZN9rocsparseL23gebsr2gebsr_fast_kernelIL20rocsparse_direction_1ELi16ELi8EdEEvii21rocsparse_index_base_PKT2_PKiS7_iiiiS2_PS3_PiS9_ii,@function
_ZN9rocsparseL23gebsr2gebsr_fast_kernelIL20rocsparse_direction_1ELi16ELi8EdEEvii21rocsparse_index_base_PKT2_PKiS7_iiiiS2_PS3_PiS9_ii: ; @_ZN9rocsparseL23gebsr2gebsr_fast_kernelIL20rocsparse_direction_1ELi16ELi8EdEEvii21rocsparse_index_base_PKT2_PKiS7_iiiiS2_PS3_PiS9_ii
; %bb.0:
	s_load_dwordx4 s[8:11], s[4:5], 0x28
	s_load_dword s33, s[4:5], 0x38
	s_load_dwordx2 s[12:13], s[4:5], 0x58
	v_lshrrev_b32_e32 v4, 3, v0
	s_lshl_b32 s2, s6, 1
	s_waitcnt lgkmcnt(0)
	s_abs_i32 s3, s8
	v_cvt_f32_u32_e32 v1, s3
	s_sub_i32 s0, 0, s3
	v_and_b32_e32 v0, 7, v0
	s_load_dword s6, s[4:5], 0x0
	s_load_dword s38, s[4:5], 0x8
	v_rcp_iflag_f32_e32 v1, v1
	v_cmp_gt_i32_e32 vcc, s12, v0
	v_mov_b32_e32 v7, 0
	v_mov_b32_e32 v8, 0
	v_mul_f32_e32 v1, 0x4f7ffffe, v1
	v_cvt_u32_f32_e32 v5, v1
	v_or_b32_e32 v1, s2, v4
	v_mul_lo_u32 v6, s0, v5
	v_mad_u64_u32 v[2:3], s[0:1], v1, s12, v[0:1]
	v_mul_hi_u32 v3, v5, v6
	v_sub_u32_e32 v6, 0, v2
	v_max_i32_e32 v6, v2, v6
	v_xor_b32_e32 v2, s8, v2
	v_add_u32_e32 v3, v5, v3
	v_mul_hi_u32 v3, v6, v3
	v_ashrrev_i32_e32 v5, 31, v2
	v_mul_lo_u32 v9, v3, s3
	v_add_u32_e32 v2, 1, v3
	v_sub_u32_e32 v6, v6, v9
	v_cmp_le_u32_e64 s[0:1], s3, v6
	v_cndmask_b32_e64 v2, v3, v2, s[0:1]
	v_subrev_u32_e32 v3, s3, v6
	v_cndmask_b32_e64 v3, v6, v3, s[0:1]
	v_add_u32_e32 v6, 1, v2
	v_cmp_le_u32_e64 s[0:1], s3, v3
	v_cndmask_b32_e64 v2, v2, v6, s[0:1]
	v_xor_b32_e32 v6, v2, v5
	v_sub_u32_e32 v2, v6, v5
	s_waitcnt lgkmcnt(0)
	v_cmp_gt_i32_e64 s[0:1], s6, v2
	s_and_b64 s[6:7], vcc, s[0:1]
	v_mov_b32_e32 v9, 0
	s_and_saveexec_b64 s[0:1], s[6:7]
	s_cbranch_execnz .LBB25_3
; %bb.1:
	s_or_b64 exec, exec, s[0:1]
	v_cmp_gt_i32_e32 vcc, s10, v1
	s_and_saveexec_b64 s[0:1], vcc
	s_cbranch_execnz .LBB25_4
.LBB25_2:
	s_or_b64 exec, exec, s[0:1]
	s_cmp_lt_i32 s11, 1
	s_cbranch_scc0 .LBB25_5
	s_branch .LBB25_31
.LBB25_3:
	s_load_dwordx2 s[6:7], s[4:5], 0x18
	v_ashrrev_i32_e32 v3, 31, v2
	v_lshlrev_b64 v[2:3], 2, v[2:3]
	s_waitcnt lgkmcnt(0)
	v_mov_b32_e32 v8, s7
	v_add_co_u32_e32 v2, vcc, s6, v2
	v_addc_co_u32_e32 v3, vcc, v8, v3, vcc
	global_load_dwordx2 v[2:3], v[2:3], off
	s_waitcnt vmcnt(0)
	v_subrev_u32_e32 v9, s38, v2
	v_subrev_u32_e32 v8, s38, v3
	s_or_b64 exec, exec, s[0:1]
	v_cmp_gt_i32_e32 vcc, s10, v1
	s_and_saveexec_b64 s[0:1], vcc
	s_cbranch_execz .LBB25_2
.LBB25_4:
	s_load_dwordx2 s[6:7], s[4:5], 0x48
	v_ashrrev_i32_e32 v2, 31, v1
	v_lshlrev_b64 v[1:2], 2, v[1:2]
	s_waitcnt lgkmcnt(0)
	v_mov_b32_e32 v3, s7
	v_add_co_u32_e32 v1, vcc, s6, v1
	v_addc_co_u32_e32 v2, vcc, v3, v2, vcc
	global_load_dword v1, v[1:2], off
	s_waitcnt vmcnt(0)
	v_subrev_u32_e32 v7, s33, v1
	s_or_b64 exec, exec, s[0:1]
	s_cmp_lt_i32 s11, 1
	s_cbranch_scc1 .LBB25_31
.LBB25_5:
	s_cmp_gt_i32 s9, 0
	s_cselect_b64 s[20:21], -1, 0
	s_abs_i32 s10, s13
	v_cvt_f32_u32_e32 v1, s10
	s_sub_i32 s3, 0, s10
	s_load_dwordx2 s[6:7], s[4:5], 0x50
	s_load_dwordx2 s[14:15], s[4:5], 0x40
	;; [unrolled: 1-line block ×4, first 2 shown]
	v_add_u32_e32 v4, s2, v4
	v_rcp_iflag_f32_e32 v1, v1
	v_cmp_eq_u32_e64 s[0:1], 7, v0
	v_add_u32_e32 v10, -1, v7
	s_ashr_i32 s39, s13, 31
	v_mul_f32_e32 v1, 0x4f7ffffe, v1
	v_cvt_u32_f32_e32 v3, v1
	v_mbcnt_lo_u32_b32 v1, -1, 0
	v_mbcnt_hi_u32_b32 v11, -1, v1
	v_lshl_or_b32 v11, v11, 2, 28
	v_mul_lo_u32 v2, s3, v3
	s_mul_i32 s40, s9, s8
	s_mov_b64 s[4:5], 0
	v_mov_b32_e32 v13, 0
	v_mul_hi_u32 v12, v3, v2
	v_mad_u64_u32 v[1:2], s[2:3], s12, v4, v[0:1]
	v_sub_u32_e32 v2, v5, v6
	v_add_u32_e32 v12, v3, v12
	v_cndmask_b32_e64 v3, 0, 1, s[20:21]
	v_mov_b32_e32 v5, 0
	v_cmp_ne_u32_e64 s[2:3], 1, v3
	s_branch .LBB25_7
.LBB25_6:                               ;   in Loop: Header=BB25_7 Depth=1
	s_or_b64 exec, exec, s[20:21]
	s_waitcnt lgkmcnt(0)
	v_add_u32_e32 v5, 1, v14
	v_cmp_le_i32_e32 vcc, s11, v5
	s_or_b64 s[4:5], vcc, s[4:5]
	s_andn2_b64 exec, exec, s[4:5]
	s_cbranch_execz .LBB25_31
.LBB25_7:                               ; =>This Loop Header: Depth=1
                                        ;     Child Loop BB25_11 Depth 2
                                        ;       Child Loop BB25_13 Depth 3
                                        ;     Child Loop BB25_21 Depth 2
                                        ;       Child Loop BB25_24 Depth 3
	v_cmp_lt_i32_e32 vcc, v9, v8
	v_mov_b32_e32 v6, s11
	s_and_saveexec_b64 s[20:21], vcc
	s_cbranch_execz .LBB25_16
; %bb.8:                                ;   in Loop: Header=BB25_7 Depth=1
	s_mov_b64 s[22:23], 0
	v_mov_b32_e32 v6, s11
	v_mov_b32_e32 v3, v9
	s_branch .LBB25_11
.LBB25_9:                               ;   in Loop: Header=BB25_11 Depth=2
	s_mov_b64 s[24:25], 0
.LBB25_10:                              ;   in Loop: Header=BB25_11 Depth=2
	v_add_u32_e32 v3, 1, v3
	v_cmp_ge_i32_e32 vcc, v3, v8
	s_or_b64 s[24:25], s[24:25], vcc
	s_and_b64 s[24:25], exec, s[24:25]
	s_or_b64 s[22:23], s[24:25], s[22:23]
	s_andn2_b64 exec, exec, s[22:23]
	s_cbranch_execz .LBB25_15
.LBB25_11:                              ;   Parent Loop BB25_7 Depth=1
                                        ; =>  This Loop Header: Depth=2
                                        ;       Child Loop BB25_13 Depth 3
	s_and_b64 vcc, exec, s[2:3]
	s_cbranch_vccnz .LBB25_9
; %bb.12:                               ;   in Loop: Header=BB25_11 Depth=2
	v_ashrrev_i32_e32 v4, 31, v3
	v_lshlrev_b64 v[14:15], 2, v[3:4]
	s_waitcnt lgkmcnt(0)
	v_mov_b32_e32 v4, s19
	v_add_co_u32_e32 v14, vcc, s18, v14
	v_addc_co_u32_e32 v15, vcc, v4, v15, vcc
	global_load_dword v4, v[14:15], off
	s_mov_b32 s30, 0
	s_mov_b64 s[28:29], 0
	s_mov_b64 s[26:27], 0
                                        ; implicit-def: $sgpr24_sgpr25
	s_waitcnt vmcnt(0)
	v_subrev_u32_e32 v4, s38, v4
	v_mul_lo_u32 v4, v4, s9
.LBB25_13:                              ;   Parent Loop BB25_7 Depth=1
                                        ;     Parent Loop BB25_11 Depth=2
                                        ; =>    This Inner Loop Header: Depth=3
	v_add_u32_e32 v14, s30, v4
	v_sub_u32_e32 v16, 0, v14
	v_ashrrev_i32_e32 v15, 31, v14
	v_max_i32_e32 v14, v14, v16
	v_mul_hi_u32 v16, v14, v12
	v_xor_b32_e32 v15, s39, v15
	s_add_i32 s30, s30, 1
	v_mul_lo_u32 v17, v16, s10
	v_add_u32_e32 v18, 1, v16
	v_sub_u32_e32 v14, v14, v17
	v_cmp_le_u32_e32 vcc, s10, v14
	v_subrev_u32_e32 v17, s10, v14
	v_cndmask_b32_e32 v16, v16, v18, vcc
	v_cndmask_b32_e32 v14, v14, v17, vcc
	v_add_u32_e32 v17, 1, v16
	v_cmp_le_u32_e32 vcc, s10, v14
	v_cndmask_b32_e32 v14, v16, v17, vcc
	v_xor_b32_e32 v14, v14, v15
	v_sub_u32_e32 v14, v14, v15
	v_cmp_ge_i32_e32 vcc, v14, v5
	s_or_b64 s[28:29], vcc, s[28:29]
	s_cmp_ge_i32 s30, s9
	s_cselect_b64 s[34:35], -1, 0
	s_or_b64 s[34:35], vcc, s[34:35]
	s_and_b64 s[34:35], exec, s[34:35]
	s_or_b64 s[26:27], s[34:35], s[26:27]
	s_andn2_b64 s[24:25], s[24:25], exec
	s_and_b64 s[34:35], s[28:29], exec
	v_cndmask_b32_e32 v6, v6, v14, vcc
	v_cndmask_b32_e32 v9, v9, v3, vcc
	s_or_b64 s[24:25], s[24:25], s[34:35]
	s_andn2_b64 exec, exec, s[26:27]
	s_cbranch_execnz .LBB25_13
; %bb.14:                               ;   in Loop: Header=BB25_11 Depth=2
	s_or_b64 exec, exec, s[26:27]
	s_branch .LBB25_10
.LBB25_15:                              ;   in Loop: Header=BB25_7 Depth=1
	s_or_b64 exec, exec, s[22:23]
.LBB25_16:                              ;   in Loop: Header=BB25_7 Depth=1
	s_or_b64 exec, exec, s[20:21]
	v_mov_b32_dpp v3, v6 row_shr:1 row_mask:0xf bank_mask:0xf
	v_min_i32_e32 v3, v3, v6
	s_nop 1
	v_mov_b32_dpp v4, v3 row_shr:2 row_mask:0xf bank_mask:0xf
	v_min_i32_e32 v3, v4, v3
	s_nop 1
	v_mov_b32_dpp v4, v3 row_shr:4 row_mask:0xf bank_mask:0xe
	v_min_i32_e32 v3, v4, v3
	v_cmp_gt_i32_e32 vcc, s11, v3
	s_and_b64 s[22:23], s[0:1], vcc
	s_and_saveexec_b64 s[20:21], s[22:23]
	s_cbranch_execz .LBB25_18
; %bb.17:                               ;   in Loop: Header=BB25_7 Depth=1
	v_add_u32_e32 v4, v13, v7
	v_ashrrev_i32_e32 v5, 31, v4
	v_lshlrev_b64 v[4:5], 2, v[4:5]
	v_add_u32_e32 v6, 1, v13
	s_waitcnt lgkmcnt(0)
	v_mov_b32_e32 v13, s7
	v_add_co_u32_e32 v4, vcc, s6, v4
	v_addc_co_u32_e32 v5, vcc, v13, v5, vcc
	v_add_u32_e32 v13, s33, v3
	global_store_dword v[4:5], v13, off
	v_mov_b32_e32 v13, v6
.LBB25_18:                              ;   in Loop: Header=BB25_7 Depth=1
	s_or_b64 exec, exec, s[20:21]
	ds_bpermute_b32 v14, v11, v3
	ds_bpermute_b32 v13, v11, v13
	v_cmp_lt_i32_e32 vcc, v9, v8
	s_and_saveexec_b64 s[20:21], vcc
	s_cbranch_execz .LBB25_6
; %bb.19:                               ;   in Loop: Header=BB25_7 Depth=1
	v_mad_u64_u32 v[3:4], s[22:23], s9, v9, v[2:3]
	s_waitcnt lgkmcnt(0)
	v_add_u32_e32 v5, v10, v13
	v_mul_lo_u32 v15, v5, s13
	v_mul_lo_u32 v16, v14, s13
	v_mad_u64_u32 v[3:4], s[22:23], s8, v3, v[1:2]
	s_mov_b64 s[22:23], 0
	v_mov_b32_e32 v4, v9
	s_branch .LBB25_21
.LBB25_20:                              ;   in Loop: Header=BB25_21 Depth=2
	s_or_b64 exec, exec, s[28:29]
	s_and_b64 s[24:25], exec, s[24:25]
	s_or_b64 s[22:23], s[24:25], s[22:23]
	s_andn2_b64 exec, exec, s[22:23]
	s_cbranch_execz .LBB25_6
.LBB25_21:                              ;   Parent Loop BB25_7 Depth=1
                                        ; =>  This Loop Header: Depth=2
                                        ;       Child Loop BB25_24 Depth 3
	s_mov_b64 s[24:25], -1
	s_and_b64 vcc, exec, s[2:3]
	s_mov_b64 s[26:27], -1
	s_cbranch_vccnz .LBB25_29
; %bb.22:                               ;   in Loop: Header=BB25_21 Depth=2
	v_ashrrev_i32_e32 v5, 31, v4
	v_lshlrev_b64 v[5:6], 2, v[4:5]
	v_mov_b32_e32 v17, s19
	v_add_co_u32_e32 v5, vcc, s18, v5
	v_addc_co_u32_e32 v6, vcc, v17, v6, vcc
	global_load_dword v5, v[5:6], off
	s_mov_b64 s[28:29], 0
	s_mov_b32 s41, s9
                                        ; implicit-def: $sgpr26_sgpr27
	s_waitcnt vmcnt(0)
	v_subrev_u32_e32 v5, s38, v5
	v_mul_lo_u32 v17, v5, s9
	v_mov_b32_e32 v5, v3
	s_branch .LBB25_24
.LBB25_23:                              ;   in Loop: Header=BB25_24 Depth=3
	s_or_b64 exec, exec, s[36:37]
	s_xor_b64 s[34:35], s[34:35], -1
	s_and_b64 s[30:31], exec, s[30:31]
	s_or_b64 s[28:29], s[30:31], s[28:29]
	s_andn2_b64 s[26:27], s[26:27], exec
	s_and_b64 s[30:31], s[34:35], exec
	s_or_b64 s[26:27], s[26:27], s[30:31]
	s_andn2_b64 exec, exec, s[28:29]
	s_cbranch_execz .LBB25_28
.LBB25_24:                              ;   Parent Loop BB25_7 Depth=1
                                        ;     Parent Loop BB25_21 Depth=2
                                        ; =>    This Inner Loop Header: Depth=3
	v_sub_u32_e32 v6, 0, v17
	v_max_i32_e32 v6, v17, v6
	v_mul_hi_u32 v18, v6, v12
	v_ashrrev_i32_e32 v20, 31, v17
	v_xor_b32_e32 v20, s39, v20
	v_mul_lo_u32 v19, v18, s10
	v_add_u32_e32 v21, 1, v18
	v_sub_u32_e32 v6, v6, v19
	v_cmp_le_u32_e32 vcc, s10, v6
	v_subrev_u32_e32 v19, s10, v6
	v_cndmask_b32_e32 v18, v18, v21, vcc
	v_cndmask_b32_e32 v6, v6, v19, vcc
	v_add_u32_e32 v19, 1, v18
	v_cmp_le_u32_e32 vcc, s10, v6
	v_cndmask_b32_e32 v6, v18, v19, vcc
	v_xor_b32_e32 v6, v6, v20
	v_sub_u32_e32 v18, v6, v20
	v_cmp_eq_u32_e32 vcc, v18, v14
	s_and_saveexec_b64 s[30:31], vcc
	s_cbranch_execz .LBB25_26
; %bb.25:                               ;   in Loop: Header=BB25_24 Depth=3
	v_ashrrev_i32_e32 v6, 31, v5
	v_lshlrev_b64 v[19:20], 3, v[5:6]
	v_mov_b32_e32 v6, s17
	v_add_co_u32_e32 v19, vcc, s16, v19
	v_addc_co_u32_e32 v20, vcc, v6, v20, vcc
	global_load_dwordx2 v[19:20], v[19:20], off
	v_sub_u32_e32 v6, v17, v16
	v_add_u32_e32 v6, v6, v15
	v_mad_u64_u32 v[21:22], s[34:35], v6, s12, v[0:1]
	v_mov_b32_e32 v6, s15
	v_ashrrev_i32_e32 v22, 31, v21
	v_lshlrev_b64 v[21:22], 3, v[21:22]
	v_add_co_u32_e32 v21, vcc, s14, v21
	v_addc_co_u32_e32 v22, vcc, v6, v22, vcc
	s_waitcnt vmcnt(0)
	global_store_dwordx2 v[21:22], v[19:20], off
.LBB25_26:                              ;   in Loop: Header=BB25_24 Depth=3
	s_or_b64 exec, exec, s[30:31]
	v_cmp_le_i32_e32 vcc, v18, v14
	s_mov_b64 s[30:31], -1
	s_mov_b64 s[34:35], -1
	s_and_saveexec_b64 s[36:37], vcc
	s_cbranch_execz .LBB25_23
; %bb.27:                               ;   in Loop: Header=BB25_24 Depth=3
	s_add_i32 s41, s41, -1
	s_cmp_eq_u32 s41, 0
	s_cselect_b64 s[30:31], -1, 0
	v_add_u32_e32 v17, 1, v17
	v_add_u32_e32 v5, s8, v5
	s_xor_b64 s[34:35], exec, -1
	s_orn2_b64 s[30:31], s[30:31], exec
	s_branch .LBB25_23
.LBB25_28:                              ;   in Loop: Header=BB25_21 Depth=2
	s_or_b64 exec, exec, s[28:29]
.LBB25_29:                              ;   in Loop: Header=BB25_21 Depth=2
	s_and_saveexec_b64 s[28:29], s[26:27]
	s_cbranch_execz .LBB25_20
; %bb.30:                               ;   in Loop: Header=BB25_21 Depth=2
	v_add_u32_e32 v4, 1, v4
	v_cmp_ge_i32_e32 vcc, v4, v8
	v_add_u32_e32 v3, s40, v3
	s_orn2_b64 s[24:25], vcc, exec
	s_branch .LBB25_20
.LBB25_31:
	s_endpgm
	.section	.rodata,"a",@progbits
	.p2align	6, 0x0
	.amdhsa_kernel _ZN9rocsparseL23gebsr2gebsr_fast_kernelIL20rocsparse_direction_1ELi16ELi8EdEEvii21rocsparse_index_base_PKT2_PKiS7_iiiiS2_PS3_PiS9_ii
		.amdhsa_group_segment_fixed_size 0
		.amdhsa_private_segment_fixed_size 0
		.amdhsa_kernarg_size 96
		.amdhsa_user_sgpr_count 6
		.amdhsa_user_sgpr_private_segment_buffer 1
		.amdhsa_user_sgpr_dispatch_ptr 0
		.amdhsa_user_sgpr_queue_ptr 0
		.amdhsa_user_sgpr_kernarg_segment_ptr 1
		.amdhsa_user_sgpr_dispatch_id 0
		.amdhsa_user_sgpr_flat_scratch_init 0
		.amdhsa_user_sgpr_private_segment_size 0
		.amdhsa_uses_dynamic_stack 0
		.amdhsa_system_sgpr_private_segment_wavefront_offset 0
		.amdhsa_system_sgpr_workgroup_id_x 1
		.amdhsa_system_sgpr_workgroup_id_y 0
		.amdhsa_system_sgpr_workgroup_id_z 0
		.amdhsa_system_sgpr_workgroup_info 0
		.amdhsa_system_vgpr_workitem_id 0
		.amdhsa_next_free_vgpr 23
		.amdhsa_next_free_sgpr 42
		.amdhsa_reserve_vcc 1
		.amdhsa_reserve_flat_scratch 0
		.amdhsa_float_round_mode_32 0
		.amdhsa_float_round_mode_16_64 0
		.amdhsa_float_denorm_mode_32 3
		.amdhsa_float_denorm_mode_16_64 3
		.amdhsa_dx10_clamp 1
		.amdhsa_ieee_mode 1
		.amdhsa_fp16_overflow 0
		.amdhsa_exception_fp_ieee_invalid_op 0
		.amdhsa_exception_fp_denorm_src 0
		.amdhsa_exception_fp_ieee_div_zero 0
		.amdhsa_exception_fp_ieee_overflow 0
		.amdhsa_exception_fp_ieee_underflow 0
		.amdhsa_exception_fp_ieee_inexact 0
		.amdhsa_exception_int_div_zero 0
	.end_amdhsa_kernel
	.section	.text._ZN9rocsparseL23gebsr2gebsr_fast_kernelIL20rocsparse_direction_1ELi16ELi8EdEEvii21rocsparse_index_base_PKT2_PKiS7_iiiiS2_PS3_PiS9_ii,"axG",@progbits,_ZN9rocsparseL23gebsr2gebsr_fast_kernelIL20rocsparse_direction_1ELi16ELi8EdEEvii21rocsparse_index_base_PKT2_PKiS7_iiiiS2_PS3_PiS9_ii,comdat
.Lfunc_end25:
	.size	_ZN9rocsparseL23gebsr2gebsr_fast_kernelIL20rocsparse_direction_1ELi16ELi8EdEEvii21rocsparse_index_base_PKT2_PKiS7_iiiiS2_PS3_PiS9_ii, .Lfunc_end25-_ZN9rocsparseL23gebsr2gebsr_fast_kernelIL20rocsparse_direction_1ELi16ELi8EdEEvii21rocsparse_index_base_PKT2_PKiS7_iiiiS2_PS3_PiS9_ii
                                        ; -- End function
	.set _ZN9rocsparseL23gebsr2gebsr_fast_kernelIL20rocsparse_direction_1ELi16ELi8EdEEvii21rocsparse_index_base_PKT2_PKiS7_iiiiS2_PS3_PiS9_ii.num_vgpr, 23
	.set _ZN9rocsparseL23gebsr2gebsr_fast_kernelIL20rocsparse_direction_1ELi16ELi8EdEEvii21rocsparse_index_base_PKT2_PKiS7_iiiiS2_PS3_PiS9_ii.num_agpr, 0
	.set _ZN9rocsparseL23gebsr2gebsr_fast_kernelIL20rocsparse_direction_1ELi16ELi8EdEEvii21rocsparse_index_base_PKT2_PKiS7_iiiiS2_PS3_PiS9_ii.numbered_sgpr, 42
	.set _ZN9rocsparseL23gebsr2gebsr_fast_kernelIL20rocsparse_direction_1ELi16ELi8EdEEvii21rocsparse_index_base_PKT2_PKiS7_iiiiS2_PS3_PiS9_ii.num_named_barrier, 0
	.set _ZN9rocsparseL23gebsr2gebsr_fast_kernelIL20rocsparse_direction_1ELi16ELi8EdEEvii21rocsparse_index_base_PKT2_PKiS7_iiiiS2_PS3_PiS9_ii.private_seg_size, 0
	.set _ZN9rocsparseL23gebsr2gebsr_fast_kernelIL20rocsparse_direction_1ELi16ELi8EdEEvii21rocsparse_index_base_PKT2_PKiS7_iiiiS2_PS3_PiS9_ii.uses_vcc, 1
	.set _ZN9rocsparseL23gebsr2gebsr_fast_kernelIL20rocsparse_direction_1ELi16ELi8EdEEvii21rocsparse_index_base_PKT2_PKiS7_iiiiS2_PS3_PiS9_ii.uses_flat_scratch, 0
	.set _ZN9rocsparseL23gebsr2gebsr_fast_kernelIL20rocsparse_direction_1ELi16ELi8EdEEvii21rocsparse_index_base_PKT2_PKiS7_iiiiS2_PS3_PiS9_ii.has_dyn_sized_stack, 0
	.set _ZN9rocsparseL23gebsr2gebsr_fast_kernelIL20rocsparse_direction_1ELi16ELi8EdEEvii21rocsparse_index_base_PKT2_PKiS7_iiiiS2_PS3_PiS9_ii.has_recursion, 0
	.set _ZN9rocsparseL23gebsr2gebsr_fast_kernelIL20rocsparse_direction_1ELi16ELi8EdEEvii21rocsparse_index_base_PKT2_PKiS7_iiiiS2_PS3_PiS9_ii.has_indirect_call, 0
	.section	.AMDGPU.csdata,"",@progbits
; Kernel info:
; codeLenInByte = 1516
; TotalNumSgprs: 46
; NumVgprs: 23
; ScratchSize: 0
; MemoryBound: 0
; FloatMode: 240
; IeeeMode: 1
; LDSByteSize: 0 bytes/workgroup (compile time only)
; SGPRBlocks: 5
; VGPRBlocks: 5
; NumSGPRsForWavesPerEU: 46
; NumVGPRsForWavesPerEU: 23
; Occupancy: 10
; WaveLimiterHint : 0
; COMPUTE_PGM_RSRC2:SCRATCH_EN: 0
; COMPUTE_PGM_RSRC2:USER_SGPR: 6
; COMPUTE_PGM_RSRC2:TRAP_HANDLER: 0
; COMPUTE_PGM_RSRC2:TGID_X_EN: 1
; COMPUTE_PGM_RSRC2:TGID_Y_EN: 0
; COMPUTE_PGM_RSRC2:TGID_Z_EN: 0
; COMPUTE_PGM_RSRC2:TIDIG_COMP_CNT: 0
	.section	.text._ZN9rocsparseL23gebsr2gebsr_fast_kernelIL20rocsparse_direction_1ELi16ELi16EdEEvii21rocsparse_index_base_PKT2_PKiS7_iiiiS2_PS3_PiS9_ii,"axG",@progbits,_ZN9rocsparseL23gebsr2gebsr_fast_kernelIL20rocsparse_direction_1ELi16ELi16EdEEvii21rocsparse_index_base_PKT2_PKiS7_iiiiS2_PS3_PiS9_ii,comdat
	.globl	_ZN9rocsparseL23gebsr2gebsr_fast_kernelIL20rocsparse_direction_1ELi16ELi16EdEEvii21rocsparse_index_base_PKT2_PKiS7_iiiiS2_PS3_PiS9_ii ; -- Begin function _ZN9rocsparseL23gebsr2gebsr_fast_kernelIL20rocsparse_direction_1ELi16ELi16EdEEvii21rocsparse_index_base_PKT2_PKiS7_iiiiS2_PS3_PiS9_ii
	.p2align	8
	.type	_ZN9rocsparseL23gebsr2gebsr_fast_kernelIL20rocsparse_direction_1ELi16ELi16EdEEvii21rocsparse_index_base_PKT2_PKiS7_iiiiS2_PS3_PiS9_ii,@function
_ZN9rocsparseL23gebsr2gebsr_fast_kernelIL20rocsparse_direction_1ELi16ELi16EdEEvii21rocsparse_index_base_PKT2_PKiS7_iiiiS2_PS3_PiS9_ii: ; @_ZN9rocsparseL23gebsr2gebsr_fast_kernelIL20rocsparse_direction_1ELi16ELi16EdEEvii21rocsparse_index_base_PKT2_PKiS7_iiiiS2_PS3_PiS9_ii
; %bb.0:
	s_load_dwordx4 s[8:11], s[4:5], 0x28
	s_load_dword s33, s[4:5], 0x38
	s_load_dwordx2 s[12:13], s[4:5], 0x58
	s_load_dword s3, s[4:5], 0x0
	s_load_dword s38, s[4:5], 0x8
	s_mov_b32 s39, 0
	s_waitcnt lgkmcnt(0)
	s_abs_i32 s2, s8
	v_cvt_f32_u32_e32 v1, s2
	s_sub_i32 s0, 0, s2
	v_cmp_gt_i32_e32 vcc, s12, v0
	v_mov_b32_e32 v7, 0
	v_rcp_iflag_f32_e32 v1, v1
	v_mov_b32_e32 v8, 0
	v_mul_f32_e32 v1, 0x4f7ffffe, v1
	v_cvt_u32_f32_e32 v2, v1
	v_mul_lo_u32 v1, s0, v2
	s_mul_i32 s0, s12, s6
	v_mul_hi_u32 v3, v2, v1
	v_add_u32_e32 v1, s0, v0
	v_sub_u32_e32 v4, 0, v1
	v_max_i32_e32 v5, v1, v4
	v_add_u32_e32 v2, v2, v3
	v_mul_hi_u32 v2, v5, v2
	v_xor_b32_e32 v4, s8, v1
	v_ashrrev_i32_e32 v4, 31, v4
	v_mul_lo_u32 v3, v2, s2
	v_add_u32_e32 v6, 1, v2
	v_sub_u32_e32 v3, v5, v3
	v_cmp_le_u32_e64 s[0:1], s2, v3
	v_subrev_u32_e32 v5, s2, v3
	v_cndmask_b32_e64 v2, v2, v6, s[0:1]
	v_cndmask_b32_e64 v3, v3, v5, s[0:1]
	v_add_u32_e32 v5, 1, v2
	v_cmp_le_u32_e64 s[0:1], s2, v3
	v_cndmask_b32_e64 v2, v2, v5, s[0:1]
	v_xor_b32_e32 v5, v2, v4
	v_sub_u32_e32 v2, v5, v4
	v_cmp_gt_i32_e64 s[0:1], s3, v2
	s_and_b64 s[2:3], vcc, s[0:1]
	s_and_saveexec_b64 s[0:1], s[2:3]
	s_cbranch_execnz .LBB26_3
; %bb.1:
	s_or_b64 exec, exec, s[0:1]
	s_cmp_ge_i32 s6, s10
	s_cbranch_scc0 .LBB26_4
.LBB26_2:
	s_cmp_lt_i32 s11, 1
	s_cbranch_scc0 .LBB26_5
	s_branch .LBB26_31
.LBB26_3:
	s_load_dwordx2 s[2:3], s[4:5], 0x18
	v_ashrrev_i32_e32 v3, 31, v2
	v_lshlrev_b64 v[2:3], 2, v[2:3]
	s_waitcnt lgkmcnt(0)
	v_mov_b32_e32 v6, s3
	v_add_co_u32_e32 v2, vcc, s2, v2
	v_addc_co_u32_e32 v3, vcc, v6, v3, vcc
	global_load_dwordx2 v[2:3], v[2:3], off
	s_waitcnt vmcnt(0)
	v_subrev_u32_e32 v8, s38, v2
	v_subrev_u32_e32 v7, s38, v3
	s_or_b64 exec, exec, s[0:1]
	s_cmp_ge_i32 s6, s10
	s_cbranch_scc1 .LBB26_2
.LBB26_4:
	s_load_dwordx2 s[0:1], s[4:5], 0x48
	s_ashr_i32 s7, s6, 31
	s_lshl_b64 s[2:3], s[6:7], 2
	s_waitcnt lgkmcnt(0)
	s_add_u32 s0, s0, s2
	s_addc_u32 s1, s1, s3
	s_load_dword s0, s[0:1], 0x0
	s_waitcnt lgkmcnt(0)
	s_sub_i32 s39, s0, s33
	s_cmp_lt_i32 s11, 1
	s_cbranch_scc1 .LBB26_31
.LBB26_5:
	s_cmp_gt_i32 s9, 0
	s_cselect_b64 s[2:3], -1, 0
	s_abs_i32 s10, s13
	v_cvt_f32_u32_e32 v2, s10
	s_load_dwordx2 s[6:7], s[4:5], 0x50
	s_load_dwordx2 s[14:15], s[4:5], 0x40
	;; [unrolled: 1-line block ×4, first 2 shown]
	s_sub_i32 s4, 0, s10
	v_mbcnt_lo_u32_b32 v6, -1, 0
	v_rcp_iflag_f32_e32 v2, v2
	v_mbcnt_hi_u32_b32 v6, -1, v6
	v_cmp_eq_u32_e64 s[0:1], 15, v0
	s_mul_i32 s40, s9, s8
	v_mul_f32_e32 v2, 0x4f7ffffe, v2
	v_cvt_u32_f32_e32 v3, v2
	v_sub_u32_e32 v2, v4, v5
	v_mov_b32_e32 v5, 0
	s_add_i32 s41, s39, -1
	v_mul_lo_u32 v4, s4, v3
	s_ashr_i32 s42, s13, 31
	v_lshl_or_b32 v9, v6, 2, 60
	s_mov_b64 s[4:5], 0
	v_mul_hi_u32 v4, v3, v4
	v_mov_b32_e32 v11, 0
	v_add_u32_e32 v10, v3, v4
	v_cndmask_b32_e64 v3, 0, 1, s[2:3]
	v_cmp_ne_u32_e64 s[2:3], 1, v3
	s_branch .LBB26_7
.LBB26_6:                               ;   in Loop: Header=BB26_7 Depth=1
	s_or_b64 exec, exec, s[20:21]
	s_waitcnt lgkmcnt(0)
	v_add_u32_e32 v5, 1, v12
	v_cmp_le_i32_e32 vcc, s11, v5
	s_or_b64 s[4:5], vcc, s[4:5]
	s_andn2_b64 exec, exec, s[4:5]
	s_cbranch_execz .LBB26_31
.LBB26_7:                               ; =>This Loop Header: Depth=1
                                        ;     Child Loop BB26_11 Depth 2
                                        ;       Child Loop BB26_13 Depth 3
                                        ;     Child Loop BB26_21 Depth 2
                                        ;       Child Loop BB26_24 Depth 3
	v_cmp_lt_i32_e32 vcc, v8, v7
	v_mov_b32_e32 v6, s11
	s_and_saveexec_b64 s[20:21], vcc
	s_cbranch_execz .LBB26_16
; %bb.8:                                ;   in Loop: Header=BB26_7 Depth=1
	s_mov_b64 s[22:23], 0
	v_mov_b32_e32 v6, s11
	v_mov_b32_e32 v3, v8
	s_branch .LBB26_11
.LBB26_9:                               ;   in Loop: Header=BB26_11 Depth=2
	s_mov_b64 s[24:25], 0
.LBB26_10:                              ;   in Loop: Header=BB26_11 Depth=2
	v_add_u32_e32 v3, 1, v3
	v_cmp_ge_i32_e32 vcc, v3, v7
	s_or_b64 s[24:25], s[24:25], vcc
	s_and_b64 s[24:25], exec, s[24:25]
	s_or_b64 s[22:23], s[24:25], s[22:23]
	s_andn2_b64 exec, exec, s[22:23]
	s_cbranch_execz .LBB26_15
.LBB26_11:                              ;   Parent Loop BB26_7 Depth=1
                                        ; =>  This Loop Header: Depth=2
                                        ;       Child Loop BB26_13 Depth 3
	s_and_b64 vcc, exec, s[2:3]
	s_cbranch_vccnz .LBB26_9
; %bb.12:                               ;   in Loop: Header=BB26_11 Depth=2
	v_ashrrev_i32_e32 v4, 31, v3
	v_lshlrev_b64 v[12:13], 2, v[3:4]
	s_waitcnt lgkmcnt(0)
	v_mov_b32_e32 v4, s19
	v_add_co_u32_e32 v12, vcc, s18, v12
	v_addc_co_u32_e32 v13, vcc, v4, v13, vcc
	global_load_dword v4, v[12:13], off
	s_mov_b32 s30, 0
	s_mov_b64 s[28:29], 0
	s_mov_b64 s[26:27], 0
                                        ; implicit-def: $sgpr24_sgpr25
	s_waitcnt vmcnt(0)
	v_subrev_u32_e32 v4, s38, v4
	v_mul_lo_u32 v4, v4, s9
.LBB26_13:                              ;   Parent Loop BB26_7 Depth=1
                                        ;     Parent Loop BB26_11 Depth=2
                                        ; =>    This Inner Loop Header: Depth=3
	v_add_u32_e32 v12, s30, v4
	v_sub_u32_e32 v14, 0, v12
	v_ashrrev_i32_e32 v13, 31, v12
	v_max_i32_e32 v12, v12, v14
	v_mul_hi_u32 v14, v12, v10
	v_xor_b32_e32 v13, s42, v13
	s_add_i32 s30, s30, 1
	v_mul_lo_u32 v15, v14, s10
	v_add_u32_e32 v16, 1, v14
	v_sub_u32_e32 v12, v12, v15
	v_cmp_le_u32_e32 vcc, s10, v12
	v_subrev_u32_e32 v15, s10, v12
	v_cndmask_b32_e32 v14, v14, v16, vcc
	v_cndmask_b32_e32 v12, v12, v15, vcc
	v_add_u32_e32 v15, 1, v14
	v_cmp_le_u32_e32 vcc, s10, v12
	v_cndmask_b32_e32 v12, v14, v15, vcc
	v_xor_b32_e32 v12, v12, v13
	v_sub_u32_e32 v12, v12, v13
	v_cmp_ge_i32_e32 vcc, v12, v5
	s_or_b64 s[28:29], vcc, s[28:29]
	s_cmp_ge_i32 s30, s9
	s_cselect_b64 s[34:35], -1, 0
	s_or_b64 s[34:35], vcc, s[34:35]
	s_and_b64 s[34:35], exec, s[34:35]
	s_or_b64 s[26:27], s[34:35], s[26:27]
	s_andn2_b64 s[24:25], s[24:25], exec
	s_and_b64 s[34:35], s[28:29], exec
	v_cndmask_b32_e32 v6, v6, v12, vcc
	v_cndmask_b32_e32 v8, v8, v3, vcc
	s_or_b64 s[24:25], s[24:25], s[34:35]
	s_andn2_b64 exec, exec, s[26:27]
	s_cbranch_execnz .LBB26_13
; %bb.14:                               ;   in Loop: Header=BB26_11 Depth=2
	s_or_b64 exec, exec, s[26:27]
	s_branch .LBB26_10
.LBB26_15:                              ;   in Loop: Header=BB26_7 Depth=1
	s_or_b64 exec, exec, s[22:23]
.LBB26_16:                              ;   in Loop: Header=BB26_7 Depth=1
	s_or_b64 exec, exec, s[20:21]
	v_mov_b32_dpp v3, v6 row_shr:1 row_mask:0xf bank_mask:0xf
	v_min_i32_e32 v3, v3, v6
	s_nop 1
	v_mov_b32_dpp v4, v3 row_shr:2 row_mask:0xf bank_mask:0xf
	v_min_i32_e32 v3, v4, v3
	s_nop 1
	;; [unrolled: 3-line block ×3, first 2 shown]
	v_mov_b32_dpp v4, v3 row_shr:8 row_mask:0xf bank_mask:0xc
	v_min_i32_e32 v3, v4, v3
	v_cmp_gt_i32_e32 vcc, s11, v3
	s_and_b64 s[22:23], s[0:1], vcc
	s_and_saveexec_b64 s[20:21], s[22:23]
	s_cbranch_execz .LBB26_18
; %bb.17:                               ;   in Loop: Header=BB26_7 Depth=1
	v_add_u32_e32 v4, s39, v11
	v_ashrrev_i32_e32 v5, 31, v4
	v_lshlrev_b64 v[4:5], 2, v[4:5]
	v_add_u32_e32 v6, 1, v11
	s_waitcnt lgkmcnt(0)
	v_mov_b32_e32 v11, s7
	v_add_co_u32_e32 v4, vcc, s6, v4
	v_addc_co_u32_e32 v5, vcc, v11, v5, vcc
	v_add_u32_e32 v11, s33, v3
	global_store_dword v[4:5], v11, off
	v_mov_b32_e32 v11, v6
.LBB26_18:                              ;   in Loop: Header=BB26_7 Depth=1
	s_or_b64 exec, exec, s[20:21]
	ds_bpermute_b32 v12, v9, v3
	ds_bpermute_b32 v11, v9, v11
	v_cmp_lt_i32_e32 vcc, v8, v7
	s_and_saveexec_b64 s[20:21], vcc
	s_cbranch_execz .LBB26_6
; %bb.19:                               ;   in Loop: Header=BB26_7 Depth=1
	v_mad_u64_u32 v[3:4], s[22:23], s9, v8, v[2:3]
	s_waitcnt lgkmcnt(0)
	v_add_u32_e32 v5, s41, v11
	v_mul_lo_u32 v13, v5, s13
	v_mul_lo_u32 v14, v12, s13
	v_mad_u64_u32 v[3:4], s[22:23], s8, v3, v[1:2]
	s_mov_b64 s[22:23], 0
	v_mov_b32_e32 v4, v8
	s_branch .LBB26_21
.LBB26_20:                              ;   in Loop: Header=BB26_21 Depth=2
	s_or_b64 exec, exec, s[28:29]
	s_and_b64 s[24:25], exec, s[24:25]
	s_or_b64 s[22:23], s[24:25], s[22:23]
	s_andn2_b64 exec, exec, s[22:23]
	s_cbranch_execz .LBB26_6
.LBB26_21:                              ;   Parent Loop BB26_7 Depth=1
                                        ; =>  This Loop Header: Depth=2
                                        ;       Child Loop BB26_24 Depth 3
	s_mov_b64 s[24:25], -1
	s_and_b64 vcc, exec, s[2:3]
	s_mov_b64 s[26:27], -1
	s_cbranch_vccnz .LBB26_29
; %bb.22:                               ;   in Loop: Header=BB26_21 Depth=2
	v_ashrrev_i32_e32 v5, 31, v4
	v_lshlrev_b64 v[5:6], 2, v[4:5]
	v_mov_b32_e32 v15, s19
	v_add_co_u32_e32 v5, vcc, s18, v5
	v_addc_co_u32_e32 v6, vcc, v15, v6, vcc
	global_load_dword v5, v[5:6], off
	s_mov_b64 s[28:29], 0
	s_mov_b32 s43, s9
                                        ; implicit-def: $sgpr26_sgpr27
	s_waitcnt vmcnt(0)
	v_subrev_u32_e32 v5, s38, v5
	v_mul_lo_u32 v15, v5, s9
	v_mov_b32_e32 v5, v3
	s_branch .LBB26_24
.LBB26_23:                              ;   in Loop: Header=BB26_24 Depth=3
	s_or_b64 exec, exec, s[36:37]
	s_xor_b64 s[34:35], s[34:35], -1
	s_and_b64 s[30:31], exec, s[30:31]
	s_or_b64 s[28:29], s[30:31], s[28:29]
	s_andn2_b64 s[26:27], s[26:27], exec
	s_and_b64 s[30:31], s[34:35], exec
	s_or_b64 s[26:27], s[26:27], s[30:31]
	s_andn2_b64 exec, exec, s[28:29]
	s_cbranch_execz .LBB26_28
.LBB26_24:                              ;   Parent Loop BB26_7 Depth=1
                                        ;     Parent Loop BB26_21 Depth=2
                                        ; =>    This Inner Loop Header: Depth=3
	v_sub_u32_e32 v6, 0, v15
	v_max_i32_e32 v6, v15, v6
	v_mul_hi_u32 v16, v6, v10
	v_ashrrev_i32_e32 v18, 31, v15
	v_xor_b32_e32 v18, s42, v18
	v_mul_lo_u32 v17, v16, s10
	v_add_u32_e32 v19, 1, v16
	v_sub_u32_e32 v6, v6, v17
	v_cmp_le_u32_e32 vcc, s10, v6
	v_subrev_u32_e32 v17, s10, v6
	v_cndmask_b32_e32 v16, v16, v19, vcc
	v_cndmask_b32_e32 v6, v6, v17, vcc
	v_add_u32_e32 v17, 1, v16
	v_cmp_le_u32_e32 vcc, s10, v6
	v_cndmask_b32_e32 v6, v16, v17, vcc
	v_xor_b32_e32 v6, v6, v18
	v_sub_u32_e32 v16, v6, v18
	v_cmp_eq_u32_e32 vcc, v16, v12
	s_and_saveexec_b64 s[30:31], vcc
	s_cbranch_execz .LBB26_26
; %bb.25:                               ;   in Loop: Header=BB26_24 Depth=3
	v_ashrrev_i32_e32 v6, 31, v5
	v_lshlrev_b64 v[17:18], 3, v[5:6]
	v_mov_b32_e32 v6, s17
	v_add_co_u32_e32 v17, vcc, s16, v17
	v_addc_co_u32_e32 v18, vcc, v6, v18, vcc
	global_load_dwordx2 v[17:18], v[17:18], off
	v_sub_u32_e32 v6, v15, v14
	v_add_u32_e32 v6, v6, v13
	v_mad_u64_u32 v[19:20], s[34:35], v6, s12, v[0:1]
	v_mov_b32_e32 v6, s15
	v_ashrrev_i32_e32 v20, 31, v19
	v_lshlrev_b64 v[19:20], 3, v[19:20]
	v_add_co_u32_e32 v19, vcc, s14, v19
	v_addc_co_u32_e32 v20, vcc, v6, v20, vcc
	s_waitcnt vmcnt(0)
	global_store_dwordx2 v[19:20], v[17:18], off
.LBB26_26:                              ;   in Loop: Header=BB26_24 Depth=3
	s_or_b64 exec, exec, s[30:31]
	v_cmp_le_i32_e32 vcc, v16, v12
	s_mov_b64 s[30:31], -1
	s_mov_b64 s[34:35], -1
	s_and_saveexec_b64 s[36:37], vcc
	s_cbranch_execz .LBB26_23
; %bb.27:                               ;   in Loop: Header=BB26_24 Depth=3
	s_add_i32 s43, s43, -1
	s_cmp_eq_u32 s43, 0
	s_cselect_b64 s[30:31], -1, 0
	v_add_u32_e32 v15, 1, v15
	v_add_u32_e32 v5, s8, v5
	s_xor_b64 s[34:35], exec, -1
	s_orn2_b64 s[30:31], s[30:31], exec
	s_branch .LBB26_23
.LBB26_28:                              ;   in Loop: Header=BB26_21 Depth=2
	s_or_b64 exec, exec, s[28:29]
.LBB26_29:                              ;   in Loop: Header=BB26_21 Depth=2
	s_and_saveexec_b64 s[28:29], s[26:27]
	s_cbranch_execz .LBB26_20
; %bb.30:                               ;   in Loop: Header=BB26_21 Depth=2
	v_add_u32_e32 v4, 1, v4
	v_cmp_ge_i32_e32 vcc, v4, v7
	v_add_u32_e32 v3, s40, v3
	s_orn2_b64 s[24:25], vcc, exec
	s_branch .LBB26_20
.LBB26_31:
	s_endpgm
	.section	.rodata,"a",@progbits
	.p2align	6, 0x0
	.amdhsa_kernel _ZN9rocsparseL23gebsr2gebsr_fast_kernelIL20rocsparse_direction_1ELi16ELi16EdEEvii21rocsparse_index_base_PKT2_PKiS7_iiiiS2_PS3_PiS9_ii
		.amdhsa_group_segment_fixed_size 0
		.amdhsa_private_segment_fixed_size 0
		.amdhsa_kernarg_size 96
		.amdhsa_user_sgpr_count 6
		.amdhsa_user_sgpr_private_segment_buffer 1
		.amdhsa_user_sgpr_dispatch_ptr 0
		.amdhsa_user_sgpr_queue_ptr 0
		.amdhsa_user_sgpr_kernarg_segment_ptr 1
		.amdhsa_user_sgpr_dispatch_id 0
		.amdhsa_user_sgpr_flat_scratch_init 0
		.amdhsa_user_sgpr_private_segment_size 0
		.amdhsa_uses_dynamic_stack 0
		.amdhsa_system_sgpr_private_segment_wavefront_offset 0
		.amdhsa_system_sgpr_workgroup_id_x 1
		.amdhsa_system_sgpr_workgroup_id_y 0
		.amdhsa_system_sgpr_workgroup_id_z 0
		.amdhsa_system_sgpr_workgroup_info 0
		.amdhsa_system_vgpr_workitem_id 0
		.amdhsa_next_free_vgpr 21
		.amdhsa_next_free_sgpr 44
		.amdhsa_reserve_vcc 1
		.amdhsa_reserve_flat_scratch 0
		.amdhsa_float_round_mode_32 0
		.amdhsa_float_round_mode_16_64 0
		.amdhsa_float_denorm_mode_32 3
		.amdhsa_float_denorm_mode_16_64 3
		.amdhsa_dx10_clamp 1
		.amdhsa_ieee_mode 1
		.amdhsa_fp16_overflow 0
		.amdhsa_exception_fp_ieee_invalid_op 0
		.amdhsa_exception_fp_denorm_src 0
		.amdhsa_exception_fp_ieee_div_zero 0
		.amdhsa_exception_fp_ieee_overflow 0
		.amdhsa_exception_fp_ieee_underflow 0
		.amdhsa_exception_fp_ieee_inexact 0
		.amdhsa_exception_int_div_zero 0
	.end_amdhsa_kernel
	.section	.text._ZN9rocsparseL23gebsr2gebsr_fast_kernelIL20rocsparse_direction_1ELi16ELi16EdEEvii21rocsparse_index_base_PKT2_PKiS7_iiiiS2_PS3_PiS9_ii,"axG",@progbits,_ZN9rocsparseL23gebsr2gebsr_fast_kernelIL20rocsparse_direction_1ELi16ELi16EdEEvii21rocsparse_index_base_PKT2_PKiS7_iiiiS2_PS3_PiS9_ii,comdat
.Lfunc_end26:
	.size	_ZN9rocsparseL23gebsr2gebsr_fast_kernelIL20rocsparse_direction_1ELi16ELi16EdEEvii21rocsparse_index_base_PKT2_PKiS7_iiiiS2_PS3_PiS9_ii, .Lfunc_end26-_ZN9rocsparseL23gebsr2gebsr_fast_kernelIL20rocsparse_direction_1ELi16ELi16EdEEvii21rocsparse_index_base_PKT2_PKiS7_iiiiS2_PS3_PiS9_ii
                                        ; -- End function
	.set _ZN9rocsparseL23gebsr2gebsr_fast_kernelIL20rocsparse_direction_1ELi16ELi16EdEEvii21rocsparse_index_base_PKT2_PKiS7_iiiiS2_PS3_PiS9_ii.num_vgpr, 21
	.set _ZN9rocsparseL23gebsr2gebsr_fast_kernelIL20rocsparse_direction_1ELi16ELi16EdEEvii21rocsparse_index_base_PKT2_PKiS7_iiiiS2_PS3_PiS9_ii.num_agpr, 0
	.set _ZN9rocsparseL23gebsr2gebsr_fast_kernelIL20rocsparse_direction_1ELi16ELi16EdEEvii21rocsparse_index_base_PKT2_PKiS7_iiiiS2_PS3_PiS9_ii.numbered_sgpr, 44
	.set _ZN9rocsparseL23gebsr2gebsr_fast_kernelIL20rocsparse_direction_1ELi16ELi16EdEEvii21rocsparse_index_base_PKT2_PKiS7_iiiiS2_PS3_PiS9_ii.num_named_barrier, 0
	.set _ZN9rocsparseL23gebsr2gebsr_fast_kernelIL20rocsparse_direction_1ELi16ELi16EdEEvii21rocsparse_index_base_PKT2_PKiS7_iiiiS2_PS3_PiS9_ii.private_seg_size, 0
	.set _ZN9rocsparseL23gebsr2gebsr_fast_kernelIL20rocsparse_direction_1ELi16ELi16EdEEvii21rocsparse_index_base_PKT2_PKiS7_iiiiS2_PS3_PiS9_ii.uses_vcc, 1
	.set _ZN9rocsparseL23gebsr2gebsr_fast_kernelIL20rocsparse_direction_1ELi16ELi16EdEEvii21rocsparse_index_base_PKT2_PKiS7_iiiiS2_PS3_PiS9_ii.uses_flat_scratch, 0
	.set _ZN9rocsparseL23gebsr2gebsr_fast_kernelIL20rocsparse_direction_1ELi16ELi16EdEEvii21rocsparse_index_base_PKT2_PKiS7_iiiiS2_PS3_PiS9_ii.has_dyn_sized_stack, 0
	.set _ZN9rocsparseL23gebsr2gebsr_fast_kernelIL20rocsparse_direction_1ELi16ELi16EdEEvii21rocsparse_index_base_PKT2_PKiS7_iiiiS2_PS3_PiS9_ii.has_recursion, 0
	.set _ZN9rocsparseL23gebsr2gebsr_fast_kernelIL20rocsparse_direction_1ELi16ELi16EdEEvii21rocsparse_index_base_PKT2_PKiS7_iiiiS2_PS3_PiS9_ii.has_indirect_call, 0
	.section	.AMDGPU.csdata,"",@progbits
; Kernel info:
; codeLenInByte = 1476
; TotalNumSgprs: 48
; NumVgprs: 21
; ScratchSize: 0
; MemoryBound: 0
; FloatMode: 240
; IeeeMode: 1
; LDSByteSize: 0 bytes/workgroup (compile time only)
; SGPRBlocks: 5
; VGPRBlocks: 5
; NumSGPRsForWavesPerEU: 48
; NumVGPRsForWavesPerEU: 21
; Occupancy: 10
; WaveLimiterHint : 0
; COMPUTE_PGM_RSRC2:SCRATCH_EN: 0
; COMPUTE_PGM_RSRC2:USER_SGPR: 6
; COMPUTE_PGM_RSRC2:TRAP_HANDLER: 0
; COMPUTE_PGM_RSRC2:TGID_X_EN: 1
; COMPUTE_PGM_RSRC2:TGID_Y_EN: 0
; COMPUTE_PGM_RSRC2:TGID_Z_EN: 0
; COMPUTE_PGM_RSRC2:TIDIG_COMP_CNT: 0
	.section	.text._ZN9rocsparseL23gebsr2gebsr_fast_kernelIL20rocsparse_direction_1ELi32ELi32EdEEvii21rocsparse_index_base_PKT2_PKiS7_iiiiS2_PS3_PiS9_ii,"axG",@progbits,_ZN9rocsparseL23gebsr2gebsr_fast_kernelIL20rocsparse_direction_1ELi32ELi32EdEEvii21rocsparse_index_base_PKT2_PKiS7_iiiiS2_PS3_PiS9_ii,comdat
	.globl	_ZN9rocsparseL23gebsr2gebsr_fast_kernelIL20rocsparse_direction_1ELi32ELi32EdEEvii21rocsparse_index_base_PKT2_PKiS7_iiiiS2_PS3_PiS9_ii ; -- Begin function _ZN9rocsparseL23gebsr2gebsr_fast_kernelIL20rocsparse_direction_1ELi32ELi32EdEEvii21rocsparse_index_base_PKT2_PKiS7_iiiiS2_PS3_PiS9_ii
	.p2align	8
	.type	_ZN9rocsparseL23gebsr2gebsr_fast_kernelIL20rocsparse_direction_1ELi32ELi32EdEEvii21rocsparse_index_base_PKT2_PKiS7_iiiiS2_PS3_PiS9_ii,@function
_ZN9rocsparseL23gebsr2gebsr_fast_kernelIL20rocsparse_direction_1ELi32ELi32EdEEvii21rocsparse_index_base_PKT2_PKiS7_iiiiS2_PS3_PiS9_ii: ; @_ZN9rocsparseL23gebsr2gebsr_fast_kernelIL20rocsparse_direction_1ELi32ELi32EdEEvii21rocsparse_index_base_PKT2_PKiS7_iiiiS2_PS3_PiS9_ii
; %bb.0:
	s_load_dwordx4 s[8:11], s[4:5], 0x28
	s_load_dword s33, s[4:5], 0x38
	s_load_dwordx2 s[12:13], s[4:5], 0x58
	s_load_dword s3, s[4:5], 0x0
	s_load_dword s38, s[4:5], 0x8
	s_mov_b32 s39, 0
	s_waitcnt lgkmcnt(0)
	s_abs_i32 s2, s8
	v_cvt_f32_u32_e32 v1, s2
	s_sub_i32 s0, 0, s2
	v_cmp_gt_i32_e32 vcc, s12, v0
	v_mov_b32_e32 v7, 0
	v_rcp_iflag_f32_e32 v1, v1
	v_mov_b32_e32 v8, 0
	v_mul_f32_e32 v1, 0x4f7ffffe, v1
	v_cvt_u32_f32_e32 v2, v1
	v_mul_lo_u32 v1, s0, v2
	s_mul_i32 s0, s12, s6
	v_mul_hi_u32 v3, v2, v1
	v_add_u32_e32 v1, s0, v0
	v_sub_u32_e32 v4, 0, v1
	v_max_i32_e32 v5, v1, v4
	v_add_u32_e32 v2, v2, v3
	v_mul_hi_u32 v2, v5, v2
	v_xor_b32_e32 v4, s8, v1
	v_ashrrev_i32_e32 v4, 31, v4
	v_mul_lo_u32 v3, v2, s2
	v_add_u32_e32 v6, 1, v2
	v_sub_u32_e32 v3, v5, v3
	v_cmp_le_u32_e64 s[0:1], s2, v3
	v_subrev_u32_e32 v5, s2, v3
	v_cndmask_b32_e64 v2, v2, v6, s[0:1]
	v_cndmask_b32_e64 v3, v3, v5, s[0:1]
	v_add_u32_e32 v5, 1, v2
	v_cmp_le_u32_e64 s[0:1], s2, v3
	v_cndmask_b32_e64 v2, v2, v5, s[0:1]
	v_xor_b32_e32 v5, v2, v4
	v_sub_u32_e32 v2, v5, v4
	v_cmp_gt_i32_e64 s[0:1], s3, v2
	s_and_b64 s[2:3], vcc, s[0:1]
	s_and_saveexec_b64 s[0:1], s[2:3]
	s_cbranch_execnz .LBB27_3
; %bb.1:
	s_or_b64 exec, exec, s[0:1]
	s_cmp_ge_i32 s6, s10
	s_cbranch_scc0 .LBB27_4
.LBB27_2:
	s_cmp_lt_i32 s11, 1
	s_cbranch_scc0 .LBB27_5
	s_branch .LBB27_31
.LBB27_3:
	s_load_dwordx2 s[2:3], s[4:5], 0x18
	v_ashrrev_i32_e32 v3, 31, v2
	v_lshlrev_b64 v[2:3], 2, v[2:3]
	s_waitcnt lgkmcnt(0)
	v_mov_b32_e32 v6, s3
	v_add_co_u32_e32 v2, vcc, s2, v2
	v_addc_co_u32_e32 v3, vcc, v6, v3, vcc
	global_load_dwordx2 v[2:3], v[2:3], off
	s_waitcnt vmcnt(0)
	v_subrev_u32_e32 v8, s38, v2
	v_subrev_u32_e32 v7, s38, v3
	s_or_b64 exec, exec, s[0:1]
	s_cmp_ge_i32 s6, s10
	s_cbranch_scc1 .LBB27_2
.LBB27_4:
	s_load_dwordx2 s[0:1], s[4:5], 0x48
	s_ashr_i32 s7, s6, 31
	s_lshl_b64 s[2:3], s[6:7], 2
	s_waitcnt lgkmcnt(0)
	s_add_u32 s0, s0, s2
	s_addc_u32 s1, s1, s3
	s_load_dword s0, s[0:1], 0x0
	s_waitcnt lgkmcnt(0)
	s_sub_i32 s39, s0, s33
	s_cmp_lt_i32 s11, 1
	s_cbranch_scc1 .LBB27_31
.LBB27_5:
	s_cmp_gt_i32 s9, 0
	s_cselect_b64 s[2:3], -1, 0
	s_abs_i32 s10, s13
	v_cvt_f32_u32_e32 v2, s10
	s_load_dwordx2 s[6:7], s[4:5], 0x50
	s_load_dwordx2 s[14:15], s[4:5], 0x40
	s_load_dwordx2 s[16:17], s[4:5], 0x10
	s_load_dwordx2 s[18:19], s[4:5], 0x20
	s_sub_i32 s4, 0, s10
	v_mbcnt_lo_u32_b32 v6, -1, 0
	v_rcp_iflag_f32_e32 v2, v2
	v_mov_b32_e32 v9, 0x7c
	v_cmp_eq_u32_e64 s[0:1], 31, v0
	s_mul_i32 s40, s9, s8
	v_mul_f32_e32 v2, 0x4f7ffffe, v2
	v_cvt_u32_f32_e32 v3, v2
	v_sub_u32_e32 v2, v4, v5
	v_mbcnt_hi_u32_b32 v4, -1, v6
	s_add_i32 s41, s39, -1
	v_mul_lo_u32 v10, s4, v3
	s_ashr_i32 s42, s13, 31
	v_lshl_or_b32 v9, v4, 2, v9
	s_mov_b64 s[4:5], 0
	v_mul_hi_u32 v5, v3, v10
	v_mov_b32_e32 v11, 0
	v_add_u32_e32 v10, v3, v5
	v_cndmask_b32_e64 v3, 0, 1, s[2:3]
	v_mov_b32_e32 v5, 0
	v_cmp_ne_u32_e64 s[2:3], 1, v3
	s_branch .LBB27_7
.LBB27_6:                               ;   in Loop: Header=BB27_7 Depth=1
	s_or_b64 exec, exec, s[20:21]
	s_waitcnt lgkmcnt(0)
	v_add_u32_e32 v5, 1, v12
	v_cmp_le_i32_e32 vcc, s11, v5
	s_or_b64 s[4:5], vcc, s[4:5]
	s_andn2_b64 exec, exec, s[4:5]
	s_cbranch_execz .LBB27_31
.LBB27_7:                               ; =>This Loop Header: Depth=1
                                        ;     Child Loop BB27_11 Depth 2
                                        ;       Child Loop BB27_13 Depth 3
                                        ;     Child Loop BB27_21 Depth 2
                                        ;       Child Loop BB27_24 Depth 3
	v_cmp_lt_i32_e32 vcc, v8, v7
	v_mov_b32_e32 v6, s11
	s_and_saveexec_b64 s[20:21], vcc
	s_cbranch_execz .LBB27_16
; %bb.8:                                ;   in Loop: Header=BB27_7 Depth=1
	s_mov_b64 s[22:23], 0
	v_mov_b32_e32 v6, s11
	v_mov_b32_e32 v3, v8
	s_branch .LBB27_11
.LBB27_9:                               ;   in Loop: Header=BB27_11 Depth=2
	s_mov_b64 s[24:25], 0
.LBB27_10:                              ;   in Loop: Header=BB27_11 Depth=2
	v_add_u32_e32 v3, 1, v3
	v_cmp_ge_i32_e32 vcc, v3, v7
	s_or_b64 s[24:25], s[24:25], vcc
	s_and_b64 s[24:25], exec, s[24:25]
	s_or_b64 s[22:23], s[24:25], s[22:23]
	s_andn2_b64 exec, exec, s[22:23]
	s_cbranch_execz .LBB27_15
.LBB27_11:                              ;   Parent Loop BB27_7 Depth=1
                                        ; =>  This Loop Header: Depth=2
                                        ;       Child Loop BB27_13 Depth 3
	s_and_b64 vcc, exec, s[2:3]
	s_cbranch_vccnz .LBB27_9
; %bb.12:                               ;   in Loop: Header=BB27_11 Depth=2
	v_ashrrev_i32_e32 v4, 31, v3
	v_lshlrev_b64 v[12:13], 2, v[3:4]
	s_waitcnt lgkmcnt(0)
	v_mov_b32_e32 v4, s19
	v_add_co_u32_e32 v12, vcc, s18, v12
	v_addc_co_u32_e32 v13, vcc, v4, v13, vcc
	global_load_dword v4, v[12:13], off
	s_mov_b32 s30, 0
	s_mov_b64 s[28:29], 0
	s_mov_b64 s[26:27], 0
                                        ; implicit-def: $sgpr24_sgpr25
	s_waitcnt vmcnt(0)
	v_subrev_u32_e32 v4, s38, v4
	v_mul_lo_u32 v4, v4, s9
.LBB27_13:                              ;   Parent Loop BB27_7 Depth=1
                                        ;     Parent Loop BB27_11 Depth=2
                                        ; =>    This Inner Loop Header: Depth=3
	v_add_u32_e32 v12, s30, v4
	v_sub_u32_e32 v14, 0, v12
	v_ashrrev_i32_e32 v13, 31, v12
	v_max_i32_e32 v12, v12, v14
	v_mul_hi_u32 v14, v12, v10
	v_xor_b32_e32 v13, s42, v13
	s_add_i32 s30, s30, 1
	v_mul_lo_u32 v15, v14, s10
	v_add_u32_e32 v16, 1, v14
	v_sub_u32_e32 v12, v12, v15
	v_cmp_le_u32_e32 vcc, s10, v12
	v_subrev_u32_e32 v15, s10, v12
	v_cndmask_b32_e32 v14, v14, v16, vcc
	v_cndmask_b32_e32 v12, v12, v15, vcc
	v_add_u32_e32 v15, 1, v14
	v_cmp_le_u32_e32 vcc, s10, v12
	v_cndmask_b32_e32 v12, v14, v15, vcc
	v_xor_b32_e32 v12, v12, v13
	v_sub_u32_e32 v12, v12, v13
	v_cmp_ge_i32_e32 vcc, v12, v5
	s_or_b64 s[28:29], vcc, s[28:29]
	s_cmp_ge_i32 s30, s9
	s_cselect_b64 s[34:35], -1, 0
	s_or_b64 s[34:35], vcc, s[34:35]
	s_and_b64 s[34:35], exec, s[34:35]
	s_or_b64 s[26:27], s[34:35], s[26:27]
	s_andn2_b64 s[24:25], s[24:25], exec
	s_and_b64 s[34:35], s[28:29], exec
	v_cndmask_b32_e32 v6, v6, v12, vcc
	v_cndmask_b32_e32 v8, v8, v3, vcc
	s_or_b64 s[24:25], s[24:25], s[34:35]
	s_andn2_b64 exec, exec, s[26:27]
	s_cbranch_execnz .LBB27_13
; %bb.14:                               ;   in Loop: Header=BB27_11 Depth=2
	s_or_b64 exec, exec, s[26:27]
	s_branch .LBB27_10
.LBB27_15:                              ;   in Loop: Header=BB27_7 Depth=1
	s_or_b64 exec, exec, s[22:23]
.LBB27_16:                              ;   in Loop: Header=BB27_7 Depth=1
	s_or_b64 exec, exec, s[20:21]
	v_mov_b32_dpp v3, v6 row_shr:1 row_mask:0xf bank_mask:0xf
	v_min_i32_e32 v3, v3, v6
	s_nop 1
	v_mov_b32_dpp v4, v3 row_shr:2 row_mask:0xf bank_mask:0xf
	v_min_i32_e32 v3, v4, v3
	s_nop 1
	;; [unrolled: 3-line block ×4, first 2 shown]
	v_mov_b32_dpp v4, v3 row_bcast:15 row_mask:0xa bank_mask:0xf
	v_min_i32_e32 v3, v4, v3
	v_cmp_gt_i32_e32 vcc, s11, v3
	s_and_b64 s[22:23], s[0:1], vcc
	s_and_saveexec_b64 s[20:21], s[22:23]
	s_cbranch_execz .LBB27_18
; %bb.17:                               ;   in Loop: Header=BB27_7 Depth=1
	v_add_u32_e32 v4, s39, v11
	v_ashrrev_i32_e32 v5, 31, v4
	v_lshlrev_b64 v[4:5], 2, v[4:5]
	v_add_u32_e32 v6, 1, v11
	s_waitcnt lgkmcnt(0)
	v_mov_b32_e32 v11, s7
	v_add_co_u32_e32 v4, vcc, s6, v4
	v_addc_co_u32_e32 v5, vcc, v11, v5, vcc
	v_add_u32_e32 v11, s33, v3
	global_store_dword v[4:5], v11, off
	v_mov_b32_e32 v11, v6
.LBB27_18:                              ;   in Loop: Header=BB27_7 Depth=1
	s_or_b64 exec, exec, s[20:21]
	ds_bpermute_b32 v12, v9, v3
	ds_bpermute_b32 v11, v9, v11
	v_cmp_lt_i32_e32 vcc, v8, v7
	s_and_saveexec_b64 s[20:21], vcc
	s_cbranch_execz .LBB27_6
; %bb.19:                               ;   in Loop: Header=BB27_7 Depth=1
	v_mad_u64_u32 v[3:4], s[22:23], s9, v8, v[2:3]
	s_waitcnt lgkmcnt(0)
	v_add_u32_e32 v5, s41, v11
	v_mul_lo_u32 v13, v5, s13
	v_mul_lo_u32 v14, v12, s13
	v_mad_u64_u32 v[3:4], s[22:23], s8, v3, v[1:2]
	s_mov_b64 s[22:23], 0
	v_mov_b32_e32 v4, v8
	s_branch .LBB27_21
.LBB27_20:                              ;   in Loop: Header=BB27_21 Depth=2
	s_or_b64 exec, exec, s[28:29]
	s_and_b64 s[24:25], exec, s[24:25]
	s_or_b64 s[22:23], s[24:25], s[22:23]
	s_andn2_b64 exec, exec, s[22:23]
	s_cbranch_execz .LBB27_6
.LBB27_21:                              ;   Parent Loop BB27_7 Depth=1
                                        ; =>  This Loop Header: Depth=2
                                        ;       Child Loop BB27_24 Depth 3
	s_mov_b64 s[24:25], -1
	s_and_b64 vcc, exec, s[2:3]
	s_mov_b64 s[26:27], -1
	s_cbranch_vccnz .LBB27_29
; %bb.22:                               ;   in Loop: Header=BB27_21 Depth=2
	v_ashrrev_i32_e32 v5, 31, v4
	v_lshlrev_b64 v[5:6], 2, v[4:5]
	v_mov_b32_e32 v15, s19
	v_add_co_u32_e32 v5, vcc, s18, v5
	v_addc_co_u32_e32 v6, vcc, v15, v6, vcc
	global_load_dword v5, v[5:6], off
	s_mov_b64 s[28:29], 0
	s_mov_b32 s43, s9
                                        ; implicit-def: $sgpr26_sgpr27
	s_waitcnt vmcnt(0)
	v_subrev_u32_e32 v5, s38, v5
	v_mul_lo_u32 v15, v5, s9
	v_mov_b32_e32 v5, v3
	s_branch .LBB27_24
.LBB27_23:                              ;   in Loop: Header=BB27_24 Depth=3
	s_or_b64 exec, exec, s[36:37]
	s_xor_b64 s[34:35], s[34:35], -1
	s_and_b64 s[30:31], exec, s[30:31]
	s_or_b64 s[28:29], s[30:31], s[28:29]
	s_andn2_b64 s[26:27], s[26:27], exec
	s_and_b64 s[30:31], s[34:35], exec
	s_or_b64 s[26:27], s[26:27], s[30:31]
	s_andn2_b64 exec, exec, s[28:29]
	s_cbranch_execz .LBB27_28
.LBB27_24:                              ;   Parent Loop BB27_7 Depth=1
                                        ;     Parent Loop BB27_21 Depth=2
                                        ; =>    This Inner Loop Header: Depth=3
	v_sub_u32_e32 v6, 0, v15
	v_max_i32_e32 v6, v15, v6
	v_mul_hi_u32 v16, v6, v10
	v_ashrrev_i32_e32 v18, 31, v15
	v_xor_b32_e32 v18, s42, v18
	v_mul_lo_u32 v17, v16, s10
	v_add_u32_e32 v19, 1, v16
	v_sub_u32_e32 v6, v6, v17
	v_cmp_le_u32_e32 vcc, s10, v6
	v_subrev_u32_e32 v17, s10, v6
	v_cndmask_b32_e32 v16, v16, v19, vcc
	v_cndmask_b32_e32 v6, v6, v17, vcc
	v_add_u32_e32 v17, 1, v16
	v_cmp_le_u32_e32 vcc, s10, v6
	v_cndmask_b32_e32 v6, v16, v17, vcc
	v_xor_b32_e32 v6, v6, v18
	v_sub_u32_e32 v16, v6, v18
	v_cmp_eq_u32_e32 vcc, v16, v12
	s_and_saveexec_b64 s[30:31], vcc
	s_cbranch_execz .LBB27_26
; %bb.25:                               ;   in Loop: Header=BB27_24 Depth=3
	v_ashrrev_i32_e32 v6, 31, v5
	v_lshlrev_b64 v[17:18], 3, v[5:6]
	v_mov_b32_e32 v6, s17
	v_add_co_u32_e32 v17, vcc, s16, v17
	v_addc_co_u32_e32 v18, vcc, v6, v18, vcc
	global_load_dwordx2 v[17:18], v[17:18], off
	v_sub_u32_e32 v6, v15, v14
	v_add_u32_e32 v6, v6, v13
	v_mad_u64_u32 v[19:20], s[34:35], v6, s12, v[0:1]
	v_mov_b32_e32 v6, s15
	v_ashrrev_i32_e32 v20, 31, v19
	v_lshlrev_b64 v[19:20], 3, v[19:20]
	v_add_co_u32_e32 v19, vcc, s14, v19
	v_addc_co_u32_e32 v20, vcc, v6, v20, vcc
	s_waitcnt vmcnt(0)
	global_store_dwordx2 v[19:20], v[17:18], off
.LBB27_26:                              ;   in Loop: Header=BB27_24 Depth=3
	s_or_b64 exec, exec, s[30:31]
	v_cmp_le_i32_e32 vcc, v16, v12
	s_mov_b64 s[30:31], -1
	s_mov_b64 s[34:35], -1
	s_and_saveexec_b64 s[36:37], vcc
	s_cbranch_execz .LBB27_23
; %bb.27:                               ;   in Loop: Header=BB27_24 Depth=3
	s_add_i32 s43, s43, -1
	s_cmp_eq_u32 s43, 0
	s_cselect_b64 s[30:31], -1, 0
	v_add_u32_e32 v15, 1, v15
	v_add_u32_e32 v5, s8, v5
	s_xor_b64 s[34:35], exec, -1
	s_orn2_b64 s[30:31], s[30:31], exec
	s_branch .LBB27_23
.LBB27_28:                              ;   in Loop: Header=BB27_21 Depth=2
	s_or_b64 exec, exec, s[28:29]
.LBB27_29:                              ;   in Loop: Header=BB27_21 Depth=2
	s_and_saveexec_b64 s[28:29], s[26:27]
	s_cbranch_execz .LBB27_20
; %bb.30:                               ;   in Loop: Header=BB27_21 Depth=2
	v_add_u32_e32 v4, 1, v4
	v_cmp_ge_i32_e32 vcc, v4, v7
	v_add_u32_e32 v3, s40, v3
	s_orn2_b64 s[24:25], vcc, exec
	s_branch .LBB27_20
.LBB27_31:
	s_endpgm
	.section	.rodata,"a",@progbits
	.p2align	6, 0x0
	.amdhsa_kernel _ZN9rocsparseL23gebsr2gebsr_fast_kernelIL20rocsparse_direction_1ELi32ELi32EdEEvii21rocsparse_index_base_PKT2_PKiS7_iiiiS2_PS3_PiS9_ii
		.amdhsa_group_segment_fixed_size 0
		.amdhsa_private_segment_fixed_size 0
		.amdhsa_kernarg_size 96
		.amdhsa_user_sgpr_count 6
		.amdhsa_user_sgpr_private_segment_buffer 1
		.amdhsa_user_sgpr_dispatch_ptr 0
		.amdhsa_user_sgpr_queue_ptr 0
		.amdhsa_user_sgpr_kernarg_segment_ptr 1
		.amdhsa_user_sgpr_dispatch_id 0
		.amdhsa_user_sgpr_flat_scratch_init 0
		.amdhsa_user_sgpr_private_segment_size 0
		.amdhsa_uses_dynamic_stack 0
		.amdhsa_system_sgpr_private_segment_wavefront_offset 0
		.amdhsa_system_sgpr_workgroup_id_x 1
		.amdhsa_system_sgpr_workgroup_id_y 0
		.amdhsa_system_sgpr_workgroup_id_z 0
		.amdhsa_system_sgpr_workgroup_info 0
		.amdhsa_system_vgpr_workitem_id 0
		.amdhsa_next_free_vgpr 21
		.amdhsa_next_free_sgpr 44
		.amdhsa_reserve_vcc 1
		.amdhsa_reserve_flat_scratch 0
		.amdhsa_float_round_mode_32 0
		.amdhsa_float_round_mode_16_64 0
		.amdhsa_float_denorm_mode_32 3
		.amdhsa_float_denorm_mode_16_64 3
		.amdhsa_dx10_clamp 1
		.amdhsa_ieee_mode 1
		.amdhsa_fp16_overflow 0
		.amdhsa_exception_fp_ieee_invalid_op 0
		.amdhsa_exception_fp_denorm_src 0
		.amdhsa_exception_fp_ieee_div_zero 0
		.amdhsa_exception_fp_ieee_overflow 0
		.amdhsa_exception_fp_ieee_underflow 0
		.amdhsa_exception_fp_ieee_inexact 0
		.amdhsa_exception_int_div_zero 0
	.end_amdhsa_kernel
	.section	.text._ZN9rocsparseL23gebsr2gebsr_fast_kernelIL20rocsparse_direction_1ELi32ELi32EdEEvii21rocsparse_index_base_PKT2_PKiS7_iiiiS2_PS3_PiS9_ii,"axG",@progbits,_ZN9rocsparseL23gebsr2gebsr_fast_kernelIL20rocsparse_direction_1ELi32ELi32EdEEvii21rocsparse_index_base_PKT2_PKiS7_iiiiS2_PS3_PiS9_ii,comdat
.Lfunc_end27:
	.size	_ZN9rocsparseL23gebsr2gebsr_fast_kernelIL20rocsparse_direction_1ELi32ELi32EdEEvii21rocsparse_index_base_PKT2_PKiS7_iiiiS2_PS3_PiS9_ii, .Lfunc_end27-_ZN9rocsparseL23gebsr2gebsr_fast_kernelIL20rocsparse_direction_1ELi32ELi32EdEEvii21rocsparse_index_base_PKT2_PKiS7_iiiiS2_PS3_PiS9_ii
                                        ; -- End function
	.set _ZN9rocsparseL23gebsr2gebsr_fast_kernelIL20rocsparse_direction_1ELi32ELi32EdEEvii21rocsparse_index_base_PKT2_PKiS7_iiiiS2_PS3_PiS9_ii.num_vgpr, 21
	.set _ZN9rocsparseL23gebsr2gebsr_fast_kernelIL20rocsparse_direction_1ELi32ELi32EdEEvii21rocsparse_index_base_PKT2_PKiS7_iiiiS2_PS3_PiS9_ii.num_agpr, 0
	.set _ZN9rocsparseL23gebsr2gebsr_fast_kernelIL20rocsparse_direction_1ELi32ELi32EdEEvii21rocsparse_index_base_PKT2_PKiS7_iiiiS2_PS3_PiS9_ii.numbered_sgpr, 44
	.set _ZN9rocsparseL23gebsr2gebsr_fast_kernelIL20rocsparse_direction_1ELi32ELi32EdEEvii21rocsparse_index_base_PKT2_PKiS7_iiiiS2_PS3_PiS9_ii.num_named_barrier, 0
	.set _ZN9rocsparseL23gebsr2gebsr_fast_kernelIL20rocsparse_direction_1ELi32ELi32EdEEvii21rocsparse_index_base_PKT2_PKiS7_iiiiS2_PS3_PiS9_ii.private_seg_size, 0
	.set _ZN9rocsparseL23gebsr2gebsr_fast_kernelIL20rocsparse_direction_1ELi32ELi32EdEEvii21rocsparse_index_base_PKT2_PKiS7_iiiiS2_PS3_PiS9_ii.uses_vcc, 1
	.set _ZN9rocsparseL23gebsr2gebsr_fast_kernelIL20rocsparse_direction_1ELi32ELi32EdEEvii21rocsparse_index_base_PKT2_PKiS7_iiiiS2_PS3_PiS9_ii.uses_flat_scratch, 0
	.set _ZN9rocsparseL23gebsr2gebsr_fast_kernelIL20rocsparse_direction_1ELi32ELi32EdEEvii21rocsparse_index_base_PKT2_PKiS7_iiiiS2_PS3_PiS9_ii.has_dyn_sized_stack, 0
	.set _ZN9rocsparseL23gebsr2gebsr_fast_kernelIL20rocsparse_direction_1ELi32ELi32EdEEvii21rocsparse_index_base_PKT2_PKiS7_iiiiS2_PS3_PiS9_ii.has_recursion, 0
	.set _ZN9rocsparseL23gebsr2gebsr_fast_kernelIL20rocsparse_direction_1ELi32ELi32EdEEvii21rocsparse_index_base_PKT2_PKiS7_iiiiS2_PS3_PiS9_ii.has_indirect_call, 0
	.section	.AMDGPU.csdata,"",@progbits
; Kernel info:
; codeLenInByte = 1500
; TotalNumSgprs: 48
; NumVgprs: 21
; ScratchSize: 0
; MemoryBound: 0
; FloatMode: 240
; IeeeMode: 1
; LDSByteSize: 0 bytes/workgroup (compile time only)
; SGPRBlocks: 5
; VGPRBlocks: 5
; NumSGPRsForWavesPerEU: 48
; NumVGPRsForWavesPerEU: 21
; Occupancy: 10
; WaveLimiterHint : 0
; COMPUTE_PGM_RSRC2:SCRATCH_EN: 0
; COMPUTE_PGM_RSRC2:USER_SGPR: 6
; COMPUTE_PGM_RSRC2:TRAP_HANDLER: 0
; COMPUTE_PGM_RSRC2:TGID_X_EN: 1
; COMPUTE_PGM_RSRC2:TGID_Y_EN: 0
; COMPUTE_PGM_RSRC2:TGID_Z_EN: 0
; COMPUTE_PGM_RSRC2:TIDIG_COMP_CNT: 0
	.section	.text._ZN9rocsparseL23gebsr2gebsr_fast_kernelIL20rocsparse_direction_0ELi16ELi2E21rocsparse_complex_numIfEEEvii21rocsparse_index_base_PKT2_PKiS9_iiiiS4_PS5_PiSB_ii,"axG",@progbits,_ZN9rocsparseL23gebsr2gebsr_fast_kernelIL20rocsparse_direction_0ELi16ELi2E21rocsparse_complex_numIfEEEvii21rocsparse_index_base_PKT2_PKiS9_iiiiS4_PS5_PiSB_ii,comdat
	.globl	_ZN9rocsparseL23gebsr2gebsr_fast_kernelIL20rocsparse_direction_0ELi16ELi2E21rocsparse_complex_numIfEEEvii21rocsparse_index_base_PKT2_PKiS9_iiiiS4_PS5_PiSB_ii ; -- Begin function _ZN9rocsparseL23gebsr2gebsr_fast_kernelIL20rocsparse_direction_0ELi16ELi2E21rocsparse_complex_numIfEEEvii21rocsparse_index_base_PKT2_PKiS9_iiiiS4_PS5_PiSB_ii
	.p2align	8
	.type	_ZN9rocsparseL23gebsr2gebsr_fast_kernelIL20rocsparse_direction_0ELi16ELi2E21rocsparse_complex_numIfEEEvii21rocsparse_index_base_PKT2_PKiS9_iiiiS4_PS5_PiSB_ii,@function
_ZN9rocsparseL23gebsr2gebsr_fast_kernelIL20rocsparse_direction_0ELi16ELi2E21rocsparse_complex_numIfEEEvii21rocsparse_index_base_PKT2_PKiS9_iiiiS4_PS5_PiSB_ii: ; @_ZN9rocsparseL23gebsr2gebsr_fast_kernelIL20rocsparse_direction_0ELi16ELi2E21rocsparse_complex_numIfEEEvii21rocsparse_index_base_PKT2_PKiS9_iiiiS4_PS5_PiSB_ii
; %bb.0:
	s_load_dwordx4 s[8:11], s[4:5], 0x28
	s_load_dword s33, s[4:5], 0x38
	s_load_dwordx2 s[12:13], s[4:5], 0x58
	v_lshrrev_b32_e32 v4, 1, v0
	s_lshl_b32 s2, s6, 3
	s_waitcnt lgkmcnt(0)
	s_abs_i32 s3, s8
	v_cvt_f32_u32_e32 v1, s3
	s_sub_i32 s0, 0, s3
	v_and_b32_e32 v0, 1, v0
	s_load_dword s6, s[4:5], 0x0
	s_load_dword s38, s[4:5], 0x8
	v_rcp_iflag_f32_e32 v1, v1
	v_cmp_gt_i32_e32 vcc, s12, v0
	v_mul_f32_e32 v1, 0x4f7ffffe, v1
	v_cvt_u32_f32_e32 v5, v1
	v_or_b32_e32 v1, s2, v4
	v_mul_lo_u32 v6, s0, v5
	v_mad_u64_u32 v[2:3], s[0:1], v1, s12, v[0:1]
	v_mul_hi_u32 v3, v5, v6
	v_sub_u32_e32 v6, 0, v2
	v_max_i32_e32 v7, v2, v6
	v_xor_b32_e32 v2, s8, v2
	v_add_u32_e32 v3, v5, v3
	v_mul_hi_u32 v3, v7, v3
	v_ashrrev_i32_e32 v11, 31, v2
	v_mov_b32_e32 v5, 0
	v_mov_b32_e32 v6, 0
	v_mul_lo_u32 v8, v3, s3
	v_add_u32_e32 v2, 1, v3
	v_sub_u32_e32 v7, v7, v8
	v_cmp_le_u32_e64 s[0:1], s3, v7
	v_cndmask_b32_e64 v2, v3, v2, s[0:1]
	v_subrev_u32_e32 v3, s3, v7
	v_cndmask_b32_e64 v3, v7, v3, s[0:1]
	v_add_u32_e32 v7, 1, v2
	v_cmp_le_u32_e64 s[0:1], s3, v3
	v_cndmask_b32_e64 v2, v2, v7, s[0:1]
	v_xor_b32_e32 v12, v2, v11
	v_sub_u32_e32 v2, v12, v11
	s_waitcnt lgkmcnt(0)
	v_cmp_gt_i32_e64 s[0:1], s6, v2
	s_and_b64 s[6:7], vcc, s[0:1]
	v_mov_b32_e32 v7, 0
	s_and_saveexec_b64 s[0:1], s[6:7]
	s_cbranch_execnz .LBB28_3
; %bb.1:
	s_or_b64 exec, exec, s[0:1]
	v_cmp_gt_i32_e32 vcc, s10, v1
	s_and_saveexec_b64 s[0:1], vcc
	s_cbranch_execnz .LBB28_4
.LBB28_2:
	s_or_b64 exec, exec, s[0:1]
	s_cmp_lt_i32 s11, 1
	s_cbranch_scc0 .LBB28_5
	s_branch .LBB28_31
.LBB28_3:
	s_load_dwordx2 s[6:7], s[4:5], 0x18
	v_ashrrev_i32_e32 v3, 31, v2
	v_lshlrev_b64 v[2:3], 2, v[2:3]
	s_waitcnt lgkmcnt(0)
	v_mov_b32_e32 v6, s7
	v_add_co_u32_e32 v2, vcc, s6, v2
	v_addc_co_u32_e32 v3, vcc, v6, v3, vcc
	global_load_dwordx2 v[2:3], v[2:3], off
	s_waitcnt vmcnt(0)
	v_subrev_u32_e32 v7, s38, v2
	v_subrev_u32_e32 v6, s38, v3
	s_or_b64 exec, exec, s[0:1]
	v_cmp_gt_i32_e32 vcc, s10, v1
	s_and_saveexec_b64 s[0:1], vcc
	s_cbranch_execz .LBB28_2
.LBB28_4:
	s_load_dwordx2 s[6:7], s[4:5], 0x48
	v_ashrrev_i32_e32 v2, 31, v1
	v_lshlrev_b64 v[1:2], 2, v[1:2]
	s_waitcnt lgkmcnt(0)
	v_mov_b32_e32 v3, s7
	v_add_co_u32_e32 v1, vcc, s6, v1
	v_addc_co_u32_e32 v2, vcc, v3, v2, vcc
	global_load_dword v1, v[1:2], off
	s_waitcnt vmcnt(0)
	v_subrev_u32_e32 v5, s33, v1
	s_or_b64 exec, exec, s[0:1]
	s_cmp_lt_i32 s11, 1
	s_cbranch_scc1 .LBB28_31
.LBB28_5:
	s_cmp_gt_i32 s9, 0
	s_cselect_b64 s[20:21], -1, 0
	s_abs_i32 s10, s13
	v_cvt_f32_u32_e32 v1, s10
	s_sub_i32 s3, 0, s10
	s_load_dwordx2 s[6:7], s[4:5], 0x50
	s_load_dwordx2 s[14:15], s[4:5], 0x40
	s_load_dwordx2 s[16:17], s[4:5], 0x10
	s_load_dwordx2 s[18:19], s[4:5], 0x20
	v_add_u32_e32 v4, s2, v4
	v_rcp_iflag_f32_e32 v1, v1
	v_cmp_ne_u32_e64 s[0:1], 0, v0
	v_add_u32_e32 v8, -1, v5
	s_ashr_i32 s39, s13, 31
	v_mul_f32_e32 v1, 0x4f7ffffe, v1
	v_cvt_u32_f32_e32 v3, v1
	v_mbcnt_lo_u32_b32 v1, -1, 0
	v_mbcnt_hi_u32_b32 v9, -1, v1
	v_lshl_or_b32 v9, v9, 2, 4
	v_mul_lo_u32 v2, s3, v3
	v_sub_u32_e32 v11, v11, v12
	s_mul_i32 s40, s9, s8
	s_mov_b64 s[4:5], 0
	v_mul_hi_u32 v10, v3, v2
	v_mad_u64_u32 v[1:2], s[2:3], s12, v4, v[0:1]
	v_cndmask_b32_e64 v2, 0, 1, s[20:21]
	v_add_u32_e32 v10, v3, v10
	v_mov_b32_e32 v4, 0
	v_cmp_ne_u32_e64 s[2:3], 1, v2
	v_mov_b32_e32 v12, 0
	s_branch .LBB28_7
.LBB28_6:                               ;   in Loop: Header=BB28_7 Depth=1
	s_or_b64 exec, exec, s[20:21]
	s_waitcnt lgkmcnt(0)
	v_add_u32_e32 v4, 1, v13
	v_cmp_le_i32_e32 vcc, s11, v4
	s_or_b64 s[4:5], vcc, s[4:5]
	s_andn2_b64 exec, exec, s[4:5]
	s_cbranch_execz .LBB28_31
.LBB28_7:                               ; =>This Loop Header: Depth=1
                                        ;     Child Loop BB28_11 Depth 2
                                        ;       Child Loop BB28_13 Depth 3
                                        ;     Child Loop BB28_21 Depth 2
                                        ;       Child Loop BB28_24 Depth 3
	v_cmp_lt_i32_e32 vcc, v7, v6
	v_mov_b32_e32 v13, s11
	s_and_saveexec_b64 s[20:21], vcc
	s_cbranch_execz .LBB28_16
; %bb.8:                                ;   in Loop: Header=BB28_7 Depth=1
	s_mov_b64 s[22:23], 0
	v_mov_b32_e32 v13, s11
	v_mov_b32_e32 v2, v7
	s_branch .LBB28_11
.LBB28_9:                               ;   in Loop: Header=BB28_11 Depth=2
	s_mov_b64 s[24:25], 0
.LBB28_10:                              ;   in Loop: Header=BB28_11 Depth=2
	v_add_u32_e32 v2, 1, v2
	v_cmp_ge_i32_e32 vcc, v2, v6
	s_or_b64 s[24:25], s[24:25], vcc
	s_and_b64 s[24:25], exec, s[24:25]
	s_or_b64 s[22:23], s[24:25], s[22:23]
	s_andn2_b64 exec, exec, s[22:23]
	s_cbranch_execz .LBB28_15
.LBB28_11:                              ;   Parent Loop BB28_7 Depth=1
                                        ; =>  This Loop Header: Depth=2
                                        ;       Child Loop BB28_13 Depth 3
	s_and_b64 vcc, exec, s[2:3]
	s_cbranch_vccnz .LBB28_9
; %bb.12:                               ;   in Loop: Header=BB28_11 Depth=2
	v_ashrrev_i32_e32 v3, 31, v2
	v_lshlrev_b64 v[14:15], 2, v[2:3]
	s_waitcnt lgkmcnt(0)
	v_mov_b32_e32 v3, s19
	v_add_co_u32_e32 v14, vcc, s18, v14
	v_addc_co_u32_e32 v15, vcc, v3, v15, vcc
	global_load_dword v3, v[14:15], off
	s_mov_b32 s30, 0
	s_mov_b64 s[28:29], 0
	s_mov_b64 s[26:27], 0
                                        ; implicit-def: $sgpr24_sgpr25
	s_waitcnt vmcnt(0)
	v_subrev_u32_e32 v3, s38, v3
	v_mul_lo_u32 v3, v3, s9
.LBB28_13:                              ;   Parent Loop BB28_7 Depth=1
                                        ;     Parent Loop BB28_11 Depth=2
                                        ; =>    This Inner Loop Header: Depth=3
	v_add_u32_e32 v14, s30, v3
	v_sub_u32_e32 v16, 0, v14
	v_ashrrev_i32_e32 v15, 31, v14
	v_max_i32_e32 v14, v14, v16
	v_mul_hi_u32 v16, v14, v10
	v_xor_b32_e32 v15, s39, v15
	s_add_i32 s30, s30, 1
	v_mul_lo_u32 v17, v16, s10
	v_add_u32_e32 v18, 1, v16
	v_sub_u32_e32 v14, v14, v17
	v_cmp_le_u32_e32 vcc, s10, v14
	v_subrev_u32_e32 v17, s10, v14
	v_cndmask_b32_e32 v16, v16, v18, vcc
	v_cndmask_b32_e32 v14, v14, v17, vcc
	v_add_u32_e32 v17, 1, v16
	v_cmp_le_u32_e32 vcc, s10, v14
	v_cndmask_b32_e32 v14, v16, v17, vcc
	v_xor_b32_e32 v14, v14, v15
	v_sub_u32_e32 v14, v14, v15
	v_cmp_ge_i32_e32 vcc, v14, v4
	s_or_b64 s[28:29], vcc, s[28:29]
	s_cmp_ge_i32 s30, s9
	s_cselect_b64 s[34:35], -1, 0
	s_or_b64 s[34:35], vcc, s[34:35]
	s_and_b64 s[34:35], exec, s[34:35]
	s_or_b64 s[26:27], s[34:35], s[26:27]
	s_andn2_b64 s[24:25], s[24:25], exec
	s_and_b64 s[34:35], s[28:29], exec
	v_cndmask_b32_e32 v13, v13, v14, vcc
	v_cndmask_b32_e32 v7, v7, v2, vcc
	s_or_b64 s[24:25], s[24:25], s[34:35]
	s_andn2_b64 exec, exec, s[26:27]
	s_cbranch_execnz .LBB28_13
; %bb.14:                               ;   in Loop: Header=BB28_11 Depth=2
	s_or_b64 exec, exec, s[26:27]
	s_branch .LBB28_10
.LBB28_15:                              ;   in Loop: Header=BB28_7 Depth=1
	s_or_b64 exec, exec, s[22:23]
.LBB28_16:                              ;   in Loop: Header=BB28_7 Depth=1
	s_or_b64 exec, exec, s[20:21]
	v_mov_b32_dpp v2, v13 row_shr:1 row_mask:0xf bank_mask:0xf
	v_min_i32_e32 v2, v2, v13
	v_cmp_gt_i32_e32 vcc, s11, v2
	s_and_b64 s[22:23], s[0:1], vcc
	s_and_saveexec_b64 s[20:21], s[22:23]
	s_cbranch_execz .LBB28_18
; %bb.17:                               ;   in Loop: Header=BB28_7 Depth=1
	v_add_u32_e32 v3, v12, v5
	v_ashrrev_i32_e32 v4, 31, v3
	v_lshlrev_b64 v[3:4], 2, v[3:4]
	v_add_u32_e32 v13, 1, v12
	s_waitcnt lgkmcnt(0)
	v_mov_b32_e32 v12, s7
	v_add_co_u32_e32 v3, vcc, s6, v3
	v_addc_co_u32_e32 v4, vcc, v12, v4, vcc
	v_add_u32_e32 v12, s33, v2
	global_store_dword v[3:4], v12, off
	v_mov_b32_e32 v12, v13
.LBB28_18:                              ;   in Loop: Header=BB28_7 Depth=1
	s_or_b64 exec, exec, s[20:21]
	ds_bpermute_b32 v13, v9, v2
	ds_bpermute_b32 v12, v9, v12
	v_cmp_lt_i32_e32 vcc, v7, v6
	s_and_saveexec_b64 s[20:21], vcc
	s_cbranch_execz .LBB28_6
; %bb.19:                               ;   in Loop: Header=BB28_7 Depth=1
	s_waitcnt lgkmcnt(0)
	v_add_u32_e32 v2, v8, v12
	v_mad_u64_u32 v[2:3], s[22:23], v2, s12, v[0:1]
	v_add_u32_e32 v3, v11, v7
	v_mul_lo_u32 v15, v13, s13
	v_mad_u64_u32 v[3:4], s[22:23], s8, v3, v[1:2]
	v_mul_lo_u32 v14, v2, s13
	s_mov_b64 s[22:23], 0
	v_mul_lo_u32 v16, s9, v3
	v_mov_b32_e32 v2, v7
	s_branch .LBB28_21
.LBB28_20:                              ;   in Loop: Header=BB28_21 Depth=2
	s_or_b64 exec, exec, s[28:29]
	s_and_b64 s[24:25], exec, s[24:25]
	s_or_b64 s[22:23], s[24:25], s[22:23]
	s_andn2_b64 exec, exec, s[22:23]
	s_cbranch_execz .LBB28_6
.LBB28_21:                              ;   Parent Loop BB28_7 Depth=1
                                        ; =>  This Loop Header: Depth=2
                                        ;       Child Loop BB28_24 Depth 3
	s_mov_b64 s[24:25], -1
	s_and_b64 vcc, exec, s[2:3]
	s_mov_b64 s[26:27], -1
	s_cbranch_vccnz .LBB28_29
; %bb.22:                               ;   in Loop: Header=BB28_21 Depth=2
	v_ashrrev_i32_e32 v3, 31, v2
	v_lshlrev_b64 v[3:4], 2, v[2:3]
	v_mov_b32_e32 v17, s19
	v_add_co_u32_e32 v3, vcc, s18, v3
	v_addc_co_u32_e32 v4, vcc, v17, v4, vcc
	global_load_dword v3, v[3:4], off
	s_mov_b64 s[28:29], 0
	s_mov_b32 s41, s9
                                        ; implicit-def: $sgpr26_sgpr27
	s_waitcnt vmcnt(0)
	v_subrev_u32_e32 v3, s38, v3
	v_mul_lo_u32 v17, v3, s9
	v_mov_b32_e32 v3, v16
	s_branch .LBB28_24
.LBB28_23:                              ;   in Loop: Header=BB28_24 Depth=3
	s_or_b64 exec, exec, s[36:37]
	s_xor_b64 s[34:35], s[34:35], -1
	s_and_b64 s[30:31], exec, s[30:31]
	s_or_b64 s[28:29], s[30:31], s[28:29]
	s_andn2_b64 s[26:27], s[26:27], exec
	s_and_b64 s[30:31], s[34:35], exec
	s_or_b64 s[26:27], s[26:27], s[30:31]
	s_andn2_b64 exec, exec, s[28:29]
	s_cbranch_execz .LBB28_28
.LBB28_24:                              ;   Parent Loop BB28_7 Depth=1
                                        ;     Parent Loop BB28_21 Depth=2
                                        ; =>    This Inner Loop Header: Depth=3
	v_sub_u32_e32 v4, 0, v17
	v_max_i32_e32 v4, v17, v4
	v_mul_hi_u32 v18, v4, v10
	v_ashrrev_i32_e32 v20, 31, v17
	v_xor_b32_e32 v20, s39, v20
	v_mul_lo_u32 v19, v18, s10
	v_add_u32_e32 v21, 1, v18
	v_sub_u32_e32 v4, v4, v19
	v_cmp_le_u32_e32 vcc, s10, v4
	v_subrev_u32_e32 v19, s10, v4
	v_cndmask_b32_e32 v18, v18, v21, vcc
	v_cndmask_b32_e32 v4, v4, v19, vcc
	v_add_u32_e32 v19, 1, v18
	v_cmp_le_u32_e32 vcc, s10, v4
	v_cndmask_b32_e32 v4, v18, v19, vcc
	v_xor_b32_e32 v4, v4, v20
	v_sub_u32_e32 v18, v4, v20
	v_cmp_eq_u32_e32 vcc, v18, v13
	s_and_saveexec_b64 s[30:31], vcc
	s_cbranch_execz .LBB28_26
; %bb.25:                               ;   in Loop: Header=BB28_24 Depth=3
	v_ashrrev_i32_e32 v4, 31, v3
	v_lshlrev_b64 v[19:20], 3, v[3:4]
	v_mov_b32_e32 v4, s17
	v_add_co_u32_e32 v19, vcc, s16, v19
	v_addc_co_u32_e32 v20, vcc, v4, v20, vcc
	global_load_dwordx2 v[19:20], v[19:20], off
	v_sub_u32_e32 v4, v17, v15
	v_add_u32_e32 v21, v4, v14
	v_ashrrev_i32_e32 v22, 31, v21
	v_lshlrev_b64 v[21:22], 3, v[21:22]
	v_mov_b32_e32 v4, s15
	v_add_co_u32_e32 v21, vcc, s14, v21
	v_addc_co_u32_e32 v22, vcc, v4, v22, vcc
	s_waitcnt vmcnt(0)
	global_store_dwordx2 v[21:22], v[19:20], off
.LBB28_26:                              ;   in Loop: Header=BB28_24 Depth=3
	s_or_b64 exec, exec, s[30:31]
	v_cmp_le_i32_e32 vcc, v18, v13
	s_mov_b64 s[30:31], -1
	s_mov_b64 s[34:35], -1
	s_and_saveexec_b64 s[36:37], vcc
	s_cbranch_execz .LBB28_23
; %bb.27:                               ;   in Loop: Header=BB28_24 Depth=3
	s_add_i32 s41, s41, -1
	s_cmp_eq_u32 s41, 0
	s_cselect_b64 s[30:31], -1, 0
	v_add_u32_e32 v17, 1, v17
	v_add_u32_e32 v3, 1, v3
	s_xor_b64 s[34:35], exec, -1
	s_orn2_b64 s[30:31], s[30:31], exec
	s_branch .LBB28_23
.LBB28_28:                              ;   in Loop: Header=BB28_21 Depth=2
	s_or_b64 exec, exec, s[28:29]
.LBB28_29:                              ;   in Loop: Header=BB28_21 Depth=2
	s_and_saveexec_b64 s[28:29], s[26:27]
	s_cbranch_execz .LBB28_20
; %bb.30:                               ;   in Loop: Header=BB28_21 Depth=2
	v_add_u32_e32 v2, 1, v2
	v_cmp_ge_i32_e32 vcc, v2, v6
	v_add_u32_e32 v16, s40, v16
	s_orn2_b64 s[24:25], vcc, exec
	s_branch .LBB28_20
.LBB28_31:
	s_endpgm
	.section	.rodata,"a",@progbits
	.p2align	6, 0x0
	.amdhsa_kernel _ZN9rocsparseL23gebsr2gebsr_fast_kernelIL20rocsparse_direction_0ELi16ELi2E21rocsparse_complex_numIfEEEvii21rocsparse_index_base_PKT2_PKiS9_iiiiS4_PS5_PiSB_ii
		.amdhsa_group_segment_fixed_size 0
		.amdhsa_private_segment_fixed_size 0
		.amdhsa_kernarg_size 96
		.amdhsa_user_sgpr_count 6
		.amdhsa_user_sgpr_private_segment_buffer 1
		.amdhsa_user_sgpr_dispatch_ptr 0
		.amdhsa_user_sgpr_queue_ptr 0
		.amdhsa_user_sgpr_kernarg_segment_ptr 1
		.amdhsa_user_sgpr_dispatch_id 0
		.amdhsa_user_sgpr_flat_scratch_init 0
		.amdhsa_user_sgpr_private_segment_size 0
		.amdhsa_uses_dynamic_stack 0
		.amdhsa_system_sgpr_private_segment_wavefront_offset 0
		.amdhsa_system_sgpr_workgroup_id_x 1
		.amdhsa_system_sgpr_workgroup_id_y 0
		.amdhsa_system_sgpr_workgroup_id_z 0
		.amdhsa_system_sgpr_workgroup_info 0
		.amdhsa_system_vgpr_workitem_id 0
		.amdhsa_next_free_vgpr 23
		.amdhsa_next_free_sgpr 42
		.amdhsa_reserve_vcc 1
		.amdhsa_reserve_flat_scratch 0
		.amdhsa_float_round_mode_32 0
		.amdhsa_float_round_mode_16_64 0
		.amdhsa_float_denorm_mode_32 3
		.amdhsa_float_denorm_mode_16_64 3
		.amdhsa_dx10_clamp 1
		.amdhsa_ieee_mode 1
		.amdhsa_fp16_overflow 0
		.amdhsa_exception_fp_ieee_invalid_op 0
		.amdhsa_exception_fp_denorm_src 0
		.amdhsa_exception_fp_ieee_div_zero 0
		.amdhsa_exception_fp_ieee_overflow 0
		.amdhsa_exception_fp_ieee_underflow 0
		.amdhsa_exception_fp_ieee_inexact 0
		.amdhsa_exception_int_div_zero 0
	.end_amdhsa_kernel
	.section	.text._ZN9rocsparseL23gebsr2gebsr_fast_kernelIL20rocsparse_direction_0ELi16ELi2E21rocsparse_complex_numIfEEEvii21rocsparse_index_base_PKT2_PKiS9_iiiiS4_PS5_PiSB_ii,"axG",@progbits,_ZN9rocsparseL23gebsr2gebsr_fast_kernelIL20rocsparse_direction_0ELi16ELi2E21rocsparse_complex_numIfEEEvii21rocsparse_index_base_PKT2_PKiS9_iiiiS4_PS5_PiSB_ii,comdat
.Lfunc_end28:
	.size	_ZN9rocsparseL23gebsr2gebsr_fast_kernelIL20rocsparse_direction_0ELi16ELi2E21rocsparse_complex_numIfEEEvii21rocsparse_index_base_PKT2_PKiS9_iiiiS4_PS5_PiSB_ii, .Lfunc_end28-_ZN9rocsparseL23gebsr2gebsr_fast_kernelIL20rocsparse_direction_0ELi16ELi2E21rocsparse_complex_numIfEEEvii21rocsparse_index_base_PKT2_PKiS9_iiiiS4_PS5_PiSB_ii
                                        ; -- End function
	.set _ZN9rocsparseL23gebsr2gebsr_fast_kernelIL20rocsparse_direction_0ELi16ELi2E21rocsparse_complex_numIfEEEvii21rocsparse_index_base_PKT2_PKiS9_iiiiS4_PS5_PiSB_ii.num_vgpr, 23
	.set _ZN9rocsparseL23gebsr2gebsr_fast_kernelIL20rocsparse_direction_0ELi16ELi2E21rocsparse_complex_numIfEEEvii21rocsparse_index_base_PKT2_PKiS9_iiiiS4_PS5_PiSB_ii.num_agpr, 0
	.set _ZN9rocsparseL23gebsr2gebsr_fast_kernelIL20rocsparse_direction_0ELi16ELi2E21rocsparse_complex_numIfEEEvii21rocsparse_index_base_PKT2_PKiS9_iiiiS4_PS5_PiSB_ii.numbered_sgpr, 42
	.set _ZN9rocsparseL23gebsr2gebsr_fast_kernelIL20rocsparse_direction_0ELi16ELi2E21rocsparse_complex_numIfEEEvii21rocsparse_index_base_PKT2_PKiS9_iiiiS4_PS5_PiSB_ii.num_named_barrier, 0
	.set _ZN9rocsparseL23gebsr2gebsr_fast_kernelIL20rocsparse_direction_0ELi16ELi2E21rocsparse_complex_numIfEEEvii21rocsparse_index_base_PKT2_PKiS9_iiiiS4_PS5_PiSB_ii.private_seg_size, 0
	.set _ZN9rocsparseL23gebsr2gebsr_fast_kernelIL20rocsparse_direction_0ELi16ELi2E21rocsparse_complex_numIfEEEvii21rocsparse_index_base_PKT2_PKiS9_iiiiS4_PS5_PiSB_ii.uses_vcc, 1
	.set _ZN9rocsparseL23gebsr2gebsr_fast_kernelIL20rocsparse_direction_0ELi16ELi2E21rocsparse_complex_numIfEEEvii21rocsparse_index_base_PKT2_PKiS9_iiiiS4_PS5_PiSB_ii.uses_flat_scratch, 0
	.set _ZN9rocsparseL23gebsr2gebsr_fast_kernelIL20rocsparse_direction_0ELi16ELi2E21rocsparse_complex_numIfEEEvii21rocsparse_index_base_PKT2_PKiS9_iiiiS4_PS5_PiSB_ii.has_dyn_sized_stack, 0
	.set _ZN9rocsparseL23gebsr2gebsr_fast_kernelIL20rocsparse_direction_0ELi16ELi2E21rocsparse_complex_numIfEEEvii21rocsparse_index_base_PKT2_PKiS9_iiiiS4_PS5_PiSB_ii.has_recursion, 0
	.set _ZN9rocsparseL23gebsr2gebsr_fast_kernelIL20rocsparse_direction_0ELi16ELi2E21rocsparse_complex_numIfEEEvii21rocsparse_index_base_PKT2_PKiS9_iiiiS4_PS5_PiSB_ii.has_indirect_call, 0
	.section	.AMDGPU.csdata,"",@progbits
; Kernel info:
; codeLenInByte = 1488
; TotalNumSgprs: 46
; NumVgprs: 23
; ScratchSize: 0
; MemoryBound: 0
; FloatMode: 240
; IeeeMode: 1
; LDSByteSize: 0 bytes/workgroup (compile time only)
; SGPRBlocks: 5
; VGPRBlocks: 5
; NumSGPRsForWavesPerEU: 46
; NumVGPRsForWavesPerEU: 23
; Occupancy: 10
; WaveLimiterHint : 0
; COMPUTE_PGM_RSRC2:SCRATCH_EN: 0
; COMPUTE_PGM_RSRC2:USER_SGPR: 6
; COMPUTE_PGM_RSRC2:TRAP_HANDLER: 0
; COMPUTE_PGM_RSRC2:TGID_X_EN: 1
; COMPUTE_PGM_RSRC2:TGID_Y_EN: 0
; COMPUTE_PGM_RSRC2:TGID_Z_EN: 0
; COMPUTE_PGM_RSRC2:TIDIG_COMP_CNT: 0
	.section	.text._ZN9rocsparseL23gebsr2gebsr_fast_kernelIL20rocsparse_direction_0ELi16ELi4E21rocsparse_complex_numIfEEEvii21rocsparse_index_base_PKT2_PKiS9_iiiiS4_PS5_PiSB_ii,"axG",@progbits,_ZN9rocsparseL23gebsr2gebsr_fast_kernelIL20rocsparse_direction_0ELi16ELi4E21rocsparse_complex_numIfEEEvii21rocsparse_index_base_PKT2_PKiS9_iiiiS4_PS5_PiSB_ii,comdat
	.globl	_ZN9rocsparseL23gebsr2gebsr_fast_kernelIL20rocsparse_direction_0ELi16ELi4E21rocsparse_complex_numIfEEEvii21rocsparse_index_base_PKT2_PKiS9_iiiiS4_PS5_PiSB_ii ; -- Begin function _ZN9rocsparseL23gebsr2gebsr_fast_kernelIL20rocsparse_direction_0ELi16ELi4E21rocsparse_complex_numIfEEEvii21rocsparse_index_base_PKT2_PKiS9_iiiiS4_PS5_PiSB_ii
	.p2align	8
	.type	_ZN9rocsparseL23gebsr2gebsr_fast_kernelIL20rocsparse_direction_0ELi16ELi4E21rocsparse_complex_numIfEEEvii21rocsparse_index_base_PKT2_PKiS9_iiiiS4_PS5_PiSB_ii,@function
_ZN9rocsparseL23gebsr2gebsr_fast_kernelIL20rocsparse_direction_0ELi16ELi4E21rocsparse_complex_numIfEEEvii21rocsparse_index_base_PKT2_PKiS9_iiiiS4_PS5_PiSB_ii: ; @_ZN9rocsparseL23gebsr2gebsr_fast_kernelIL20rocsparse_direction_0ELi16ELi4E21rocsparse_complex_numIfEEEvii21rocsparse_index_base_PKT2_PKiS9_iiiiS4_PS5_PiSB_ii
; %bb.0:
	s_load_dwordx4 s[8:11], s[4:5], 0x28
	s_load_dword s33, s[4:5], 0x38
	s_load_dwordx2 s[12:13], s[4:5], 0x58
	v_lshrrev_b32_e32 v4, 2, v0
	s_lshl_b32 s2, s6, 2
	s_waitcnt lgkmcnt(0)
	s_abs_i32 s3, s8
	v_cvt_f32_u32_e32 v1, s3
	s_sub_i32 s0, 0, s3
	v_and_b32_e32 v0, 3, v0
	s_load_dword s6, s[4:5], 0x0
	s_load_dword s38, s[4:5], 0x8
	v_rcp_iflag_f32_e32 v1, v1
	v_cmp_gt_i32_e32 vcc, s12, v0
	v_mul_f32_e32 v1, 0x4f7ffffe, v1
	v_cvt_u32_f32_e32 v5, v1
	v_or_b32_e32 v1, s2, v4
	v_mul_lo_u32 v6, s0, v5
	v_mad_u64_u32 v[2:3], s[0:1], v1, s12, v[0:1]
	v_mul_hi_u32 v3, v5, v6
	v_sub_u32_e32 v6, 0, v2
	v_max_i32_e32 v7, v2, v6
	v_xor_b32_e32 v2, s8, v2
	v_add_u32_e32 v3, v5, v3
	v_mul_hi_u32 v3, v7, v3
	v_ashrrev_i32_e32 v11, 31, v2
	v_mov_b32_e32 v5, 0
	v_mov_b32_e32 v6, 0
	v_mul_lo_u32 v8, v3, s3
	v_add_u32_e32 v2, 1, v3
	v_sub_u32_e32 v7, v7, v8
	v_cmp_le_u32_e64 s[0:1], s3, v7
	v_cndmask_b32_e64 v2, v3, v2, s[0:1]
	v_subrev_u32_e32 v3, s3, v7
	v_cndmask_b32_e64 v3, v7, v3, s[0:1]
	v_add_u32_e32 v7, 1, v2
	v_cmp_le_u32_e64 s[0:1], s3, v3
	v_cndmask_b32_e64 v2, v2, v7, s[0:1]
	v_xor_b32_e32 v12, v2, v11
	v_sub_u32_e32 v2, v12, v11
	s_waitcnt lgkmcnt(0)
	v_cmp_gt_i32_e64 s[0:1], s6, v2
	s_and_b64 s[6:7], vcc, s[0:1]
	v_mov_b32_e32 v7, 0
	s_and_saveexec_b64 s[0:1], s[6:7]
	s_cbranch_execnz .LBB29_3
; %bb.1:
	s_or_b64 exec, exec, s[0:1]
	v_cmp_gt_i32_e32 vcc, s10, v1
	s_and_saveexec_b64 s[0:1], vcc
	s_cbranch_execnz .LBB29_4
.LBB29_2:
	s_or_b64 exec, exec, s[0:1]
	s_cmp_lt_i32 s11, 1
	s_cbranch_scc0 .LBB29_5
	s_branch .LBB29_31
.LBB29_3:
	s_load_dwordx2 s[6:7], s[4:5], 0x18
	v_ashrrev_i32_e32 v3, 31, v2
	v_lshlrev_b64 v[2:3], 2, v[2:3]
	s_waitcnt lgkmcnt(0)
	v_mov_b32_e32 v6, s7
	v_add_co_u32_e32 v2, vcc, s6, v2
	v_addc_co_u32_e32 v3, vcc, v6, v3, vcc
	global_load_dwordx2 v[2:3], v[2:3], off
	s_waitcnt vmcnt(0)
	v_subrev_u32_e32 v7, s38, v2
	v_subrev_u32_e32 v6, s38, v3
	s_or_b64 exec, exec, s[0:1]
	v_cmp_gt_i32_e32 vcc, s10, v1
	s_and_saveexec_b64 s[0:1], vcc
	s_cbranch_execz .LBB29_2
.LBB29_4:
	s_load_dwordx2 s[6:7], s[4:5], 0x48
	v_ashrrev_i32_e32 v2, 31, v1
	v_lshlrev_b64 v[1:2], 2, v[1:2]
	s_waitcnt lgkmcnt(0)
	v_mov_b32_e32 v3, s7
	v_add_co_u32_e32 v1, vcc, s6, v1
	v_addc_co_u32_e32 v2, vcc, v3, v2, vcc
	global_load_dword v1, v[1:2], off
	s_waitcnt vmcnt(0)
	v_subrev_u32_e32 v5, s33, v1
	s_or_b64 exec, exec, s[0:1]
	s_cmp_lt_i32 s11, 1
	s_cbranch_scc1 .LBB29_31
.LBB29_5:
	s_cmp_gt_i32 s9, 0
	s_cselect_b64 s[20:21], -1, 0
	s_abs_i32 s10, s13
	v_cvt_f32_u32_e32 v1, s10
	s_sub_i32 s3, 0, s10
	s_load_dwordx2 s[6:7], s[4:5], 0x50
	s_load_dwordx2 s[14:15], s[4:5], 0x40
	;; [unrolled: 1-line block ×4, first 2 shown]
	v_add_u32_e32 v4, s2, v4
	v_rcp_iflag_f32_e32 v1, v1
	v_cmp_eq_u32_e64 s[0:1], 3, v0
	v_add_u32_e32 v8, -1, v5
	s_ashr_i32 s39, s13, 31
	v_mul_f32_e32 v1, 0x4f7ffffe, v1
	v_cvt_u32_f32_e32 v3, v1
	v_mbcnt_lo_u32_b32 v1, -1, 0
	v_mbcnt_hi_u32_b32 v9, -1, v1
	v_lshl_or_b32 v9, v9, 2, 12
	v_mul_lo_u32 v2, s3, v3
	v_sub_u32_e32 v11, v11, v12
	s_mul_i32 s40, s9, s8
	s_mov_b64 s[4:5], 0
	v_mul_hi_u32 v10, v3, v2
	v_mad_u64_u32 v[1:2], s[2:3], s12, v4, v[0:1]
	v_cndmask_b32_e64 v2, 0, 1, s[20:21]
	v_add_u32_e32 v10, v3, v10
	v_mov_b32_e32 v4, 0
	v_cmp_ne_u32_e64 s[2:3], 1, v2
	v_mov_b32_e32 v12, 0
	s_branch .LBB29_7
.LBB29_6:                               ;   in Loop: Header=BB29_7 Depth=1
	s_or_b64 exec, exec, s[20:21]
	s_waitcnt lgkmcnt(0)
	v_add_u32_e32 v4, 1, v13
	v_cmp_le_i32_e32 vcc, s11, v4
	s_or_b64 s[4:5], vcc, s[4:5]
	s_andn2_b64 exec, exec, s[4:5]
	s_cbranch_execz .LBB29_31
.LBB29_7:                               ; =>This Loop Header: Depth=1
                                        ;     Child Loop BB29_11 Depth 2
                                        ;       Child Loop BB29_13 Depth 3
                                        ;     Child Loop BB29_21 Depth 2
                                        ;       Child Loop BB29_24 Depth 3
	v_cmp_lt_i32_e32 vcc, v7, v6
	v_mov_b32_e32 v13, s11
	s_and_saveexec_b64 s[20:21], vcc
	s_cbranch_execz .LBB29_16
; %bb.8:                                ;   in Loop: Header=BB29_7 Depth=1
	s_mov_b64 s[22:23], 0
	v_mov_b32_e32 v13, s11
	v_mov_b32_e32 v2, v7
	s_branch .LBB29_11
.LBB29_9:                               ;   in Loop: Header=BB29_11 Depth=2
	s_mov_b64 s[24:25], 0
.LBB29_10:                              ;   in Loop: Header=BB29_11 Depth=2
	v_add_u32_e32 v2, 1, v2
	v_cmp_ge_i32_e32 vcc, v2, v6
	s_or_b64 s[24:25], s[24:25], vcc
	s_and_b64 s[24:25], exec, s[24:25]
	s_or_b64 s[22:23], s[24:25], s[22:23]
	s_andn2_b64 exec, exec, s[22:23]
	s_cbranch_execz .LBB29_15
.LBB29_11:                              ;   Parent Loop BB29_7 Depth=1
                                        ; =>  This Loop Header: Depth=2
                                        ;       Child Loop BB29_13 Depth 3
	s_and_b64 vcc, exec, s[2:3]
	s_cbranch_vccnz .LBB29_9
; %bb.12:                               ;   in Loop: Header=BB29_11 Depth=2
	v_ashrrev_i32_e32 v3, 31, v2
	v_lshlrev_b64 v[14:15], 2, v[2:3]
	s_waitcnt lgkmcnt(0)
	v_mov_b32_e32 v3, s19
	v_add_co_u32_e32 v14, vcc, s18, v14
	v_addc_co_u32_e32 v15, vcc, v3, v15, vcc
	global_load_dword v3, v[14:15], off
	s_mov_b32 s30, 0
	s_mov_b64 s[28:29], 0
	s_mov_b64 s[26:27], 0
                                        ; implicit-def: $sgpr24_sgpr25
	s_waitcnt vmcnt(0)
	v_subrev_u32_e32 v3, s38, v3
	v_mul_lo_u32 v3, v3, s9
.LBB29_13:                              ;   Parent Loop BB29_7 Depth=1
                                        ;     Parent Loop BB29_11 Depth=2
                                        ; =>    This Inner Loop Header: Depth=3
	v_add_u32_e32 v14, s30, v3
	v_sub_u32_e32 v16, 0, v14
	v_ashrrev_i32_e32 v15, 31, v14
	v_max_i32_e32 v14, v14, v16
	v_mul_hi_u32 v16, v14, v10
	v_xor_b32_e32 v15, s39, v15
	s_add_i32 s30, s30, 1
	v_mul_lo_u32 v17, v16, s10
	v_add_u32_e32 v18, 1, v16
	v_sub_u32_e32 v14, v14, v17
	v_cmp_le_u32_e32 vcc, s10, v14
	v_subrev_u32_e32 v17, s10, v14
	v_cndmask_b32_e32 v16, v16, v18, vcc
	v_cndmask_b32_e32 v14, v14, v17, vcc
	v_add_u32_e32 v17, 1, v16
	v_cmp_le_u32_e32 vcc, s10, v14
	v_cndmask_b32_e32 v14, v16, v17, vcc
	v_xor_b32_e32 v14, v14, v15
	v_sub_u32_e32 v14, v14, v15
	v_cmp_ge_i32_e32 vcc, v14, v4
	s_or_b64 s[28:29], vcc, s[28:29]
	s_cmp_ge_i32 s30, s9
	s_cselect_b64 s[34:35], -1, 0
	s_or_b64 s[34:35], vcc, s[34:35]
	s_and_b64 s[34:35], exec, s[34:35]
	s_or_b64 s[26:27], s[34:35], s[26:27]
	s_andn2_b64 s[24:25], s[24:25], exec
	s_and_b64 s[34:35], s[28:29], exec
	v_cndmask_b32_e32 v13, v13, v14, vcc
	v_cndmask_b32_e32 v7, v7, v2, vcc
	s_or_b64 s[24:25], s[24:25], s[34:35]
	s_andn2_b64 exec, exec, s[26:27]
	s_cbranch_execnz .LBB29_13
; %bb.14:                               ;   in Loop: Header=BB29_11 Depth=2
	s_or_b64 exec, exec, s[26:27]
	s_branch .LBB29_10
.LBB29_15:                              ;   in Loop: Header=BB29_7 Depth=1
	s_or_b64 exec, exec, s[22:23]
.LBB29_16:                              ;   in Loop: Header=BB29_7 Depth=1
	s_or_b64 exec, exec, s[20:21]
	v_mov_b32_dpp v2, v13 row_shr:1 row_mask:0xf bank_mask:0xf
	v_min_i32_e32 v2, v2, v13
	s_nop 1
	v_mov_b32_dpp v3, v2 row_shr:2 row_mask:0xf bank_mask:0xf
	v_min_i32_e32 v2, v3, v2
	v_cmp_gt_i32_e32 vcc, s11, v2
	s_and_b64 s[22:23], s[0:1], vcc
	s_and_saveexec_b64 s[20:21], s[22:23]
	s_cbranch_execz .LBB29_18
; %bb.17:                               ;   in Loop: Header=BB29_7 Depth=1
	v_add_u32_e32 v3, v12, v5
	v_ashrrev_i32_e32 v4, 31, v3
	v_lshlrev_b64 v[3:4], 2, v[3:4]
	v_add_u32_e32 v13, 1, v12
	s_waitcnt lgkmcnt(0)
	v_mov_b32_e32 v12, s7
	v_add_co_u32_e32 v3, vcc, s6, v3
	v_addc_co_u32_e32 v4, vcc, v12, v4, vcc
	v_add_u32_e32 v12, s33, v2
	global_store_dword v[3:4], v12, off
	v_mov_b32_e32 v12, v13
.LBB29_18:                              ;   in Loop: Header=BB29_7 Depth=1
	s_or_b64 exec, exec, s[20:21]
	ds_bpermute_b32 v13, v9, v2
	ds_bpermute_b32 v12, v9, v12
	v_cmp_lt_i32_e32 vcc, v7, v6
	s_and_saveexec_b64 s[20:21], vcc
	s_cbranch_execz .LBB29_6
; %bb.19:                               ;   in Loop: Header=BB29_7 Depth=1
	s_waitcnt lgkmcnt(0)
	v_add_u32_e32 v2, v8, v12
	v_mad_u64_u32 v[2:3], s[22:23], v2, s12, v[0:1]
	v_add_u32_e32 v3, v11, v7
	v_mul_lo_u32 v15, v13, s13
	v_mad_u64_u32 v[3:4], s[22:23], s8, v3, v[1:2]
	v_mul_lo_u32 v14, v2, s13
	s_mov_b64 s[22:23], 0
	v_mul_lo_u32 v16, s9, v3
	v_mov_b32_e32 v2, v7
	s_branch .LBB29_21
.LBB29_20:                              ;   in Loop: Header=BB29_21 Depth=2
	s_or_b64 exec, exec, s[28:29]
	s_and_b64 s[24:25], exec, s[24:25]
	s_or_b64 s[22:23], s[24:25], s[22:23]
	s_andn2_b64 exec, exec, s[22:23]
	s_cbranch_execz .LBB29_6
.LBB29_21:                              ;   Parent Loop BB29_7 Depth=1
                                        ; =>  This Loop Header: Depth=2
                                        ;       Child Loop BB29_24 Depth 3
	s_mov_b64 s[24:25], -1
	s_and_b64 vcc, exec, s[2:3]
	s_mov_b64 s[26:27], -1
	s_cbranch_vccnz .LBB29_29
; %bb.22:                               ;   in Loop: Header=BB29_21 Depth=2
	v_ashrrev_i32_e32 v3, 31, v2
	v_lshlrev_b64 v[3:4], 2, v[2:3]
	v_mov_b32_e32 v17, s19
	v_add_co_u32_e32 v3, vcc, s18, v3
	v_addc_co_u32_e32 v4, vcc, v17, v4, vcc
	global_load_dword v3, v[3:4], off
	s_mov_b64 s[28:29], 0
	s_mov_b32 s41, s9
                                        ; implicit-def: $sgpr26_sgpr27
	s_waitcnt vmcnt(0)
	v_subrev_u32_e32 v3, s38, v3
	v_mul_lo_u32 v17, v3, s9
	v_mov_b32_e32 v3, v16
	s_branch .LBB29_24
.LBB29_23:                              ;   in Loop: Header=BB29_24 Depth=3
	s_or_b64 exec, exec, s[36:37]
	s_xor_b64 s[34:35], s[34:35], -1
	s_and_b64 s[30:31], exec, s[30:31]
	s_or_b64 s[28:29], s[30:31], s[28:29]
	s_andn2_b64 s[26:27], s[26:27], exec
	s_and_b64 s[30:31], s[34:35], exec
	s_or_b64 s[26:27], s[26:27], s[30:31]
	s_andn2_b64 exec, exec, s[28:29]
	s_cbranch_execz .LBB29_28
.LBB29_24:                              ;   Parent Loop BB29_7 Depth=1
                                        ;     Parent Loop BB29_21 Depth=2
                                        ; =>    This Inner Loop Header: Depth=3
	v_sub_u32_e32 v4, 0, v17
	v_max_i32_e32 v4, v17, v4
	v_mul_hi_u32 v18, v4, v10
	v_ashrrev_i32_e32 v20, 31, v17
	v_xor_b32_e32 v20, s39, v20
	v_mul_lo_u32 v19, v18, s10
	v_add_u32_e32 v21, 1, v18
	v_sub_u32_e32 v4, v4, v19
	v_cmp_le_u32_e32 vcc, s10, v4
	v_subrev_u32_e32 v19, s10, v4
	v_cndmask_b32_e32 v18, v18, v21, vcc
	v_cndmask_b32_e32 v4, v4, v19, vcc
	v_add_u32_e32 v19, 1, v18
	v_cmp_le_u32_e32 vcc, s10, v4
	v_cndmask_b32_e32 v4, v18, v19, vcc
	v_xor_b32_e32 v4, v4, v20
	v_sub_u32_e32 v18, v4, v20
	v_cmp_eq_u32_e32 vcc, v18, v13
	s_and_saveexec_b64 s[30:31], vcc
	s_cbranch_execz .LBB29_26
; %bb.25:                               ;   in Loop: Header=BB29_24 Depth=3
	v_ashrrev_i32_e32 v4, 31, v3
	v_lshlrev_b64 v[19:20], 3, v[3:4]
	v_mov_b32_e32 v4, s17
	v_add_co_u32_e32 v19, vcc, s16, v19
	v_addc_co_u32_e32 v20, vcc, v4, v20, vcc
	global_load_dwordx2 v[19:20], v[19:20], off
	v_sub_u32_e32 v4, v17, v15
	v_add_u32_e32 v21, v4, v14
	v_ashrrev_i32_e32 v22, 31, v21
	v_lshlrev_b64 v[21:22], 3, v[21:22]
	v_mov_b32_e32 v4, s15
	v_add_co_u32_e32 v21, vcc, s14, v21
	v_addc_co_u32_e32 v22, vcc, v4, v22, vcc
	s_waitcnt vmcnt(0)
	global_store_dwordx2 v[21:22], v[19:20], off
.LBB29_26:                              ;   in Loop: Header=BB29_24 Depth=3
	s_or_b64 exec, exec, s[30:31]
	v_cmp_le_i32_e32 vcc, v18, v13
	s_mov_b64 s[30:31], -1
	s_mov_b64 s[34:35], -1
	s_and_saveexec_b64 s[36:37], vcc
	s_cbranch_execz .LBB29_23
; %bb.27:                               ;   in Loop: Header=BB29_24 Depth=3
	s_add_i32 s41, s41, -1
	s_cmp_eq_u32 s41, 0
	s_cselect_b64 s[30:31], -1, 0
	v_add_u32_e32 v17, 1, v17
	v_add_u32_e32 v3, 1, v3
	s_xor_b64 s[34:35], exec, -1
	s_orn2_b64 s[30:31], s[30:31], exec
	s_branch .LBB29_23
.LBB29_28:                              ;   in Loop: Header=BB29_21 Depth=2
	s_or_b64 exec, exec, s[28:29]
.LBB29_29:                              ;   in Loop: Header=BB29_21 Depth=2
	s_and_saveexec_b64 s[28:29], s[26:27]
	s_cbranch_execz .LBB29_20
; %bb.30:                               ;   in Loop: Header=BB29_21 Depth=2
	v_add_u32_e32 v2, 1, v2
	v_cmp_ge_i32_e32 vcc, v2, v6
	v_add_u32_e32 v16, s40, v16
	s_orn2_b64 s[24:25], vcc, exec
	s_branch .LBB29_20
.LBB29_31:
	s_endpgm
	.section	.rodata,"a",@progbits
	.p2align	6, 0x0
	.amdhsa_kernel _ZN9rocsparseL23gebsr2gebsr_fast_kernelIL20rocsparse_direction_0ELi16ELi4E21rocsparse_complex_numIfEEEvii21rocsparse_index_base_PKT2_PKiS9_iiiiS4_PS5_PiSB_ii
		.amdhsa_group_segment_fixed_size 0
		.amdhsa_private_segment_fixed_size 0
		.amdhsa_kernarg_size 96
		.amdhsa_user_sgpr_count 6
		.amdhsa_user_sgpr_private_segment_buffer 1
		.amdhsa_user_sgpr_dispatch_ptr 0
		.amdhsa_user_sgpr_queue_ptr 0
		.amdhsa_user_sgpr_kernarg_segment_ptr 1
		.amdhsa_user_sgpr_dispatch_id 0
		.amdhsa_user_sgpr_flat_scratch_init 0
		.amdhsa_user_sgpr_private_segment_size 0
		.amdhsa_uses_dynamic_stack 0
		.amdhsa_system_sgpr_private_segment_wavefront_offset 0
		.amdhsa_system_sgpr_workgroup_id_x 1
		.amdhsa_system_sgpr_workgroup_id_y 0
		.amdhsa_system_sgpr_workgroup_id_z 0
		.amdhsa_system_sgpr_workgroup_info 0
		.amdhsa_system_vgpr_workitem_id 0
		.amdhsa_next_free_vgpr 23
		.amdhsa_next_free_sgpr 42
		.amdhsa_reserve_vcc 1
		.amdhsa_reserve_flat_scratch 0
		.amdhsa_float_round_mode_32 0
		.amdhsa_float_round_mode_16_64 0
		.amdhsa_float_denorm_mode_32 3
		.amdhsa_float_denorm_mode_16_64 3
		.amdhsa_dx10_clamp 1
		.amdhsa_ieee_mode 1
		.amdhsa_fp16_overflow 0
		.amdhsa_exception_fp_ieee_invalid_op 0
		.amdhsa_exception_fp_denorm_src 0
		.amdhsa_exception_fp_ieee_div_zero 0
		.amdhsa_exception_fp_ieee_overflow 0
		.amdhsa_exception_fp_ieee_underflow 0
		.amdhsa_exception_fp_ieee_inexact 0
		.amdhsa_exception_int_div_zero 0
	.end_amdhsa_kernel
	.section	.text._ZN9rocsparseL23gebsr2gebsr_fast_kernelIL20rocsparse_direction_0ELi16ELi4E21rocsparse_complex_numIfEEEvii21rocsparse_index_base_PKT2_PKiS9_iiiiS4_PS5_PiSB_ii,"axG",@progbits,_ZN9rocsparseL23gebsr2gebsr_fast_kernelIL20rocsparse_direction_0ELi16ELi4E21rocsparse_complex_numIfEEEvii21rocsparse_index_base_PKT2_PKiS9_iiiiS4_PS5_PiSB_ii,comdat
.Lfunc_end29:
	.size	_ZN9rocsparseL23gebsr2gebsr_fast_kernelIL20rocsparse_direction_0ELi16ELi4E21rocsparse_complex_numIfEEEvii21rocsparse_index_base_PKT2_PKiS9_iiiiS4_PS5_PiSB_ii, .Lfunc_end29-_ZN9rocsparseL23gebsr2gebsr_fast_kernelIL20rocsparse_direction_0ELi16ELi4E21rocsparse_complex_numIfEEEvii21rocsparse_index_base_PKT2_PKiS9_iiiiS4_PS5_PiSB_ii
                                        ; -- End function
	.set _ZN9rocsparseL23gebsr2gebsr_fast_kernelIL20rocsparse_direction_0ELi16ELi4E21rocsparse_complex_numIfEEEvii21rocsparse_index_base_PKT2_PKiS9_iiiiS4_PS5_PiSB_ii.num_vgpr, 23
	.set _ZN9rocsparseL23gebsr2gebsr_fast_kernelIL20rocsparse_direction_0ELi16ELi4E21rocsparse_complex_numIfEEEvii21rocsparse_index_base_PKT2_PKiS9_iiiiS4_PS5_PiSB_ii.num_agpr, 0
	.set _ZN9rocsparseL23gebsr2gebsr_fast_kernelIL20rocsparse_direction_0ELi16ELi4E21rocsparse_complex_numIfEEEvii21rocsparse_index_base_PKT2_PKiS9_iiiiS4_PS5_PiSB_ii.numbered_sgpr, 42
	.set _ZN9rocsparseL23gebsr2gebsr_fast_kernelIL20rocsparse_direction_0ELi16ELi4E21rocsparse_complex_numIfEEEvii21rocsparse_index_base_PKT2_PKiS9_iiiiS4_PS5_PiSB_ii.num_named_barrier, 0
	.set _ZN9rocsparseL23gebsr2gebsr_fast_kernelIL20rocsparse_direction_0ELi16ELi4E21rocsparse_complex_numIfEEEvii21rocsparse_index_base_PKT2_PKiS9_iiiiS4_PS5_PiSB_ii.private_seg_size, 0
	.set _ZN9rocsparseL23gebsr2gebsr_fast_kernelIL20rocsparse_direction_0ELi16ELi4E21rocsparse_complex_numIfEEEvii21rocsparse_index_base_PKT2_PKiS9_iiiiS4_PS5_PiSB_ii.uses_vcc, 1
	.set _ZN9rocsparseL23gebsr2gebsr_fast_kernelIL20rocsparse_direction_0ELi16ELi4E21rocsparse_complex_numIfEEEvii21rocsparse_index_base_PKT2_PKiS9_iiiiS4_PS5_PiSB_ii.uses_flat_scratch, 0
	.set _ZN9rocsparseL23gebsr2gebsr_fast_kernelIL20rocsparse_direction_0ELi16ELi4E21rocsparse_complex_numIfEEEvii21rocsparse_index_base_PKT2_PKiS9_iiiiS4_PS5_PiSB_ii.has_dyn_sized_stack, 0
	.set _ZN9rocsparseL23gebsr2gebsr_fast_kernelIL20rocsparse_direction_0ELi16ELi4E21rocsparse_complex_numIfEEEvii21rocsparse_index_base_PKT2_PKiS9_iiiiS4_PS5_PiSB_ii.has_recursion, 0
	.set _ZN9rocsparseL23gebsr2gebsr_fast_kernelIL20rocsparse_direction_0ELi16ELi4E21rocsparse_complex_numIfEEEvii21rocsparse_index_base_PKT2_PKiS9_iiiiS4_PS5_PiSB_ii.has_indirect_call, 0
	.section	.AMDGPU.csdata,"",@progbits
; Kernel info:
; codeLenInByte = 1504
; TotalNumSgprs: 46
; NumVgprs: 23
; ScratchSize: 0
; MemoryBound: 0
; FloatMode: 240
; IeeeMode: 1
; LDSByteSize: 0 bytes/workgroup (compile time only)
; SGPRBlocks: 5
; VGPRBlocks: 5
; NumSGPRsForWavesPerEU: 46
; NumVGPRsForWavesPerEU: 23
; Occupancy: 10
; WaveLimiterHint : 0
; COMPUTE_PGM_RSRC2:SCRATCH_EN: 0
; COMPUTE_PGM_RSRC2:USER_SGPR: 6
; COMPUTE_PGM_RSRC2:TRAP_HANDLER: 0
; COMPUTE_PGM_RSRC2:TGID_X_EN: 1
; COMPUTE_PGM_RSRC2:TGID_Y_EN: 0
; COMPUTE_PGM_RSRC2:TGID_Z_EN: 0
; COMPUTE_PGM_RSRC2:TIDIG_COMP_CNT: 0
	.section	.text._ZN9rocsparseL23gebsr2gebsr_fast_kernelIL20rocsparse_direction_0ELi16ELi8E21rocsparse_complex_numIfEEEvii21rocsparse_index_base_PKT2_PKiS9_iiiiS4_PS5_PiSB_ii,"axG",@progbits,_ZN9rocsparseL23gebsr2gebsr_fast_kernelIL20rocsparse_direction_0ELi16ELi8E21rocsparse_complex_numIfEEEvii21rocsparse_index_base_PKT2_PKiS9_iiiiS4_PS5_PiSB_ii,comdat
	.globl	_ZN9rocsparseL23gebsr2gebsr_fast_kernelIL20rocsparse_direction_0ELi16ELi8E21rocsparse_complex_numIfEEEvii21rocsparse_index_base_PKT2_PKiS9_iiiiS4_PS5_PiSB_ii ; -- Begin function _ZN9rocsparseL23gebsr2gebsr_fast_kernelIL20rocsparse_direction_0ELi16ELi8E21rocsparse_complex_numIfEEEvii21rocsparse_index_base_PKT2_PKiS9_iiiiS4_PS5_PiSB_ii
	.p2align	8
	.type	_ZN9rocsparseL23gebsr2gebsr_fast_kernelIL20rocsparse_direction_0ELi16ELi8E21rocsparse_complex_numIfEEEvii21rocsparse_index_base_PKT2_PKiS9_iiiiS4_PS5_PiSB_ii,@function
_ZN9rocsparseL23gebsr2gebsr_fast_kernelIL20rocsparse_direction_0ELi16ELi8E21rocsparse_complex_numIfEEEvii21rocsparse_index_base_PKT2_PKiS9_iiiiS4_PS5_PiSB_ii: ; @_ZN9rocsparseL23gebsr2gebsr_fast_kernelIL20rocsparse_direction_0ELi16ELi8E21rocsparse_complex_numIfEEEvii21rocsparse_index_base_PKT2_PKiS9_iiiiS4_PS5_PiSB_ii
; %bb.0:
	s_load_dwordx4 s[8:11], s[4:5], 0x28
	s_load_dword s33, s[4:5], 0x38
	s_load_dwordx2 s[12:13], s[4:5], 0x58
	v_lshrrev_b32_e32 v4, 3, v0
	s_lshl_b32 s2, s6, 1
	s_waitcnt lgkmcnt(0)
	s_abs_i32 s3, s8
	v_cvt_f32_u32_e32 v1, s3
	s_sub_i32 s0, 0, s3
	v_and_b32_e32 v0, 7, v0
	s_load_dword s6, s[4:5], 0x0
	s_load_dword s38, s[4:5], 0x8
	v_rcp_iflag_f32_e32 v1, v1
	v_cmp_gt_i32_e32 vcc, s12, v0
	v_mul_f32_e32 v1, 0x4f7ffffe, v1
	v_cvt_u32_f32_e32 v5, v1
	v_or_b32_e32 v1, s2, v4
	v_mul_lo_u32 v6, s0, v5
	v_mad_u64_u32 v[2:3], s[0:1], v1, s12, v[0:1]
	v_mul_hi_u32 v3, v5, v6
	v_sub_u32_e32 v6, 0, v2
	v_max_i32_e32 v7, v2, v6
	v_xor_b32_e32 v2, s8, v2
	v_add_u32_e32 v3, v5, v3
	v_mul_hi_u32 v3, v7, v3
	v_ashrrev_i32_e32 v11, 31, v2
	v_mov_b32_e32 v5, 0
	v_mov_b32_e32 v6, 0
	v_mul_lo_u32 v8, v3, s3
	v_add_u32_e32 v2, 1, v3
	v_sub_u32_e32 v7, v7, v8
	v_cmp_le_u32_e64 s[0:1], s3, v7
	v_cndmask_b32_e64 v2, v3, v2, s[0:1]
	v_subrev_u32_e32 v3, s3, v7
	v_cndmask_b32_e64 v3, v7, v3, s[0:1]
	v_add_u32_e32 v7, 1, v2
	v_cmp_le_u32_e64 s[0:1], s3, v3
	v_cndmask_b32_e64 v2, v2, v7, s[0:1]
	v_xor_b32_e32 v12, v2, v11
	v_sub_u32_e32 v2, v12, v11
	s_waitcnt lgkmcnt(0)
	v_cmp_gt_i32_e64 s[0:1], s6, v2
	s_and_b64 s[6:7], vcc, s[0:1]
	v_mov_b32_e32 v7, 0
	s_and_saveexec_b64 s[0:1], s[6:7]
	s_cbranch_execnz .LBB30_3
; %bb.1:
	s_or_b64 exec, exec, s[0:1]
	v_cmp_gt_i32_e32 vcc, s10, v1
	s_and_saveexec_b64 s[0:1], vcc
	s_cbranch_execnz .LBB30_4
.LBB30_2:
	s_or_b64 exec, exec, s[0:1]
	s_cmp_lt_i32 s11, 1
	s_cbranch_scc0 .LBB30_5
	s_branch .LBB30_31
.LBB30_3:
	s_load_dwordx2 s[6:7], s[4:5], 0x18
	v_ashrrev_i32_e32 v3, 31, v2
	v_lshlrev_b64 v[2:3], 2, v[2:3]
	s_waitcnt lgkmcnt(0)
	v_mov_b32_e32 v6, s7
	v_add_co_u32_e32 v2, vcc, s6, v2
	v_addc_co_u32_e32 v3, vcc, v6, v3, vcc
	global_load_dwordx2 v[2:3], v[2:3], off
	s_waitcnt vmcnt(0)
	v_subrev_u32_e32 v7, s38, v2
	v_subrev_u32_e32 v6, s38, v3
	s_or_b64 exec, exec, s[0:1]
	v_cmp_gt_i32_e32 vcc, s10, v1
	s_and_saveexec_b64 s[0:1], vcc
	s_cbranch_execz .LBB30_2
.LBB30_4:
	s_load_dwordx2 s[6:7], s[4:5], 0x48
	v_ashrrev_i32_e32 v2, 31, v1
	v_lshlrev_b64 v[1:2], 2, v[1:2]
	s_waitcnt lgkmcnt(0)
	v_mov_b32_e32 v3, s7
	v_add_co_u32_e32 v1, vcc, s6, v1
	v_addc_co_u32_e32 v2, vcc, v3, v2, vcc
	global_load_dword v1, v[1:2], off
	s_waitcnt vmcnt(0)
	v_subrev_u32_e32 v5, s33, v1
	s_or_b64 exec, exec, s[0:1]
	s_cmp_lt_i32 s11, 1
	s_cbranch_scc1 .LBB30_31
.LBB30_5:
	s_cmp_gt_i32 s9, 0
	s_cselect_b64 s[20:21], -1, 0
	s_abs_i32 s10, s13
	v_cvt_f32_u32_e32 v1, s10
	s_sub_i32 s3, 0, s10
	s_load_dwordx2 s[6:7], s[4:5], 0x50
	s_load_dwordx2 s[14:15], s[4:5], 0x40
	;; [unrolled: 1-line block ×4, first 2 shown]
	v_add_u32_e32 v4, s2, v4
	v_rcp_iflag_f32_e32 v1, v1
	v_cmp_eq_u32_e64 s[0:1], 7, v0
	v_add_u32_e32 v8, -1, v5
	s_ashr_i32 s39, s13, 31
	v_mul_f32_e32 v1, 0x4f7ffffe, v1
	v_cvt_u32_f32_e32 v3, v1
	v_mbcnt_lo_u32_b32 v1, -1, 0
	v_mbcnt_hi_u32_b32 v9, -1, v1
	v_lshl_or_b32 v9, v9, 2, 28
	v_mul_lo_u32 v2, s3, v3
	v_sub_u32_e32 v11, v11, v12
	s_mul_i32 s40, s9, s8
	s_mov_b64 s[4:5], 0
	v_mul_hi_u32 v10, v3, v2
	v_mad_u64_u32 v[1:2], s[2:3], s12, v4, v[0:1]
	v_cndmask_b32_e64 v2, 0, 1, s[20:21]
	v_add_u32_e32 v10, v3, v10
	v_mov_b32_e32 v4, 0
	v_cmp_ne_u32_e64 s[2:3], 1, v2
	v_mov_b32_e32 v12, 0
	s_branch .LBB30_7
.LBB30_6:                               ;   in Loop: Header=BB30_7 Depth=1
	s_or_b64 exec, exec, s[20:21]
	s_waitcnt lgkmcnt(0)
	v_add_u32_e32 v4, 1, v13
	v_cmp_le_i32_e32 vcc, s11, v4
	s_or_b64 s[4:5], vcc, s[4:5]
	s_andn2_b64 exec, exec, s[4:5]
	s_cbranch_execz .LBB30_31
.LBB30_7:                               ; =>This Loop Header: Depth=1
                                        ;     Child Loop BB30_11 Depth 2
                                        ;       Child Loop BB30_13 Depth 3
                                        ;     Child Loop BB30_21 Depth 2
                                        ;       Child Loop BB30_24 Depth 3
	v_cmp_lt_i32_e32 vcc, v7, v6
	v_mov_b32_e32 v13, s11
	s_and_saveexec_b64 s[20:21], vcc
	s_cbranch_execz .LBB30_16
; %bb.8:                                ;   in Loop: Header=BB30_7 Depth=1
	s_mov_b64 s[22:23], 0
	v_mov_b32_e32 v13, s11
	v_mov_b32_e32 v2, v7
	s_branch .LBB30_11
.LBB30_9:                               ;   in Loop: Header=BB30_11 Depth=2
	s_mov_b64 s[24:25], 0
.LBB30_10:                              ;   in Loop: Header=BB30_11 Depth=2
	v_add_u32_e32 v2, 1, v2
	v_cmp_ge_i32_e32 vcc, v2, v6
	s_or_b64 s[24:25], s[24:25], vcc
	s_and_b64 s[24:25], exec, s[24:25]
	s_or_b64 s[22:23], s[24:25], s[22:23]
	s_andn2_b64 exec, exec, s[22:23]
	s_cbranch_execz .LBB30_15
.LBB30_11:                              ;   Parent Loop BB30_7 Depth=1
                                        ; =>  This Loop Header: Depth=2
                                        ;       Child Loop BB30_13 Depth 3
	s_and_b64 vcc, exec, s[2:3]
	s_cbranch_vccnz .LBB30_9
; %bb.12:                               ;   in Loop: Header=BB30_11 Depth=2
	v_ashrrev_i32_e32 v3, 31, v2
	v_lshlrev_b64 v[14:15], 2, v[2:3]
	s_waitcnt lgkmcnt(0)
	v_mov_b32_e32 v3, s19
	v_add_co_u32_e32 v14, vcc, s18, v14
	v_addc_co_u32_e32 v15, vcc, v3, v15, vcc
	global_load_dword v3, v[14:15], off
	s_mov_b32 s30, 0
	s_mov_b64 s[28:29], 0
	s_mov_b64 s[26:27], 0
                                        ; implicit-def: $sgpr24_sgpr25
	s_waitcnt vmcnt(0)
	v_subrev_u32_e32 v3, s38, v3
	v_mul_lo_u32 v3, v3, s9
.LBB30_13:                              ;   Parent Loop BB30_7 Depth=1
                                        ;     Parent Loop BB30_11 Depth=2
                                        ; =>    This Inner Loop Header: Depth=3
	v_add_u32_e32 v14, s30, v3
	v_sub_u32_e32 v16, 0, v14
	v_ashrrev_i32_e32 v15, 31, v14
	v_max_i32_e32 v14, v14, v16
	v_mul_hi_u32 v16, v14, v10
	v_xor_b32_e32 v15, s39, v15
	s_add_i32 s30, s30, 1
	v_mul_lo_u32 v17, v16, s10
	v_add_u32_e32 v18, 1, v16
	v_sub_u32_e32 v14, v14, v17
	v_cmp_le_u32_e32 vcc, s10, v14
	v_subrev_u32_e32 v17, s10, v14
	v_cndmask_b32_e32 v16, v16, v18, vcc
	v_cndmask_b32_e32 v14, v14, v17, vcc
	v_add_u32_e32 v17, 1, v16
	v_cmp_le_u32_e32 vcc, s10, v14
	v_cndmask_b32_e32 v14, v16, v17, vcc
	v_xor_b32_e32 v14, v14, v15
	v_sub_u32_e32 v14, v14, v15
	v_cmp_ge_i32_e32 vcc, v14, v4
	s_or_b64 s[28:29], vcc, s[28:29]
	s_cmp_ge_i32 s30, s9
	s_cselect_b64 s[34:35], -1, 0
	s_or_b64 s[34:35], vcc, s[34:35]
	s_and_b64 s[34:35], exec, s[34:35]
	s_or_b64 s[26:27], s[34:35], s[26:27]
	s_andn2_b64 s[24:25], s[24:25], exec
	s_and_b64 s[34:35], s[28:29], exec
	v_cndmask_b32_e32 v13, v13, v14, vcc
	v_cndmask_b32_e32 v7, v7, v2, vcc
	s_or_b64 s[24:25], s[24:25], s[34:35]
	s_andn2_b64 exec, exec, s[26:27]
	s_cbranch_execnz .LBB30_13
; %bb.14:                               ;   in Loop: Header=BB30_11 Depth=2
	s_or_b64 exec, exec, s[26:27]
	s_branch .LBB30_10
.LBB30_15:                              ;   in Loop: Header=BB30_7 Depth=1
	s_or_b64 exec, exec, s[22:23]
.LBB30_16:                              ;   in Loop: Header=BB30_7 Depth=1
	s_or_b64 exec, exec, s[20:21]
	v_mov_b32_dpp v2, v13 row_shr:1 row_mask:0xf bank_mask:0xf
	v_min_i32_e32 v2, v2, v13
	s_nop 1
	v_mov_b32_dpp v3, v2 row_shr:2 row_mask:0xf bank_mask:0xf
	v_min_i32_e32 v2, v3, v2
	s_nop 1
	v_mov_b32_dpp v3, v2 row_shr:4 row_mask:0xf bank_mask:0xe
	v_min_i32_e32 v2, v3, v2
	v_cmp_gt_i32_e32 vcc, s11, v2
	s_and_b64 s[22:23], s[0:1], vcc
	s_and_saveexec_b64 s[20:21], s[22:23]
	s_cbranch_execz .LBB30_18
; %bb.17:                               ;   in Loop: Header=BB30_7 Depth=1
	v_add_u32_e32 v3, v12, v5
	v_ashrrev_i32_e32 v4, 31, v3
	v_lshlrev_b64 v[3:4], 2, v[3:4]
	v_add_u32_e32 v13, 1, v12
	s_waitcnt lgkmcnt(0)
	v_mov_b32_e32 v12, s7
	v_add_co_u32_e32 v3, vcc, s6, v3
	v_addc_co_u32_e32 v4, vcc, v12, v4, vcc
	v_add_u32_e32 v12, s33, v2
	global_store_dword v[3:4], v12, off
	v_mov_b32_e32 v12, v13
.LBB30_18:                              ;   in Loop: Header=BB30_7 Depth=1
	s_or_b64 exec, exec, s[20:21]
	ds_bpermute_b32 v13, v9, v2
	ds_bpermute_b32 v12, v9, v12
	v_cmp_lt_i32_e32 vcc, v7, v6
	s_and_saveexec_b64 s[20:21], vcc
	s_cbranch_execz .LBB30_6
; %bb.19:                               ;   in Loop: Header=BB30_7 Depth=1
	s_waitcnt lgkmcnt(0)
	v_add_u32_e32 v2, v8, v12
	v_mad_u64_u32 v[2:3], s[22:23], v2, s12, v[0:1]
	v_add_u32_e32 v3, v11, v7
	v_mul_lo_u32 v15, v13, s13
	v_mad_u64_u32 v[3:4], s[22:23], s8, v3, v[1:2]
	v_mul_lo_u32 v14, v2, s13
	s_mov_b64 s[22:23], 0
	v_mul_lo_u32 v16, s9, v3
	v_mov_b32_e32 v2, v7
	s_branch .LBB30_21
.LBB30_20:                              ;   in Loop: Header=BB30_21 Depth=2
	s_or_b64 exec, exec, s[28:29]
	s_and_b64 s[24:25], exec, s[24:25]
	s_or_b64 s[22:23], s[24:25], s[22:23]
	s_andn2_b64 exec, exec, s[22:23]
	s_cbranch_execz .LBB30_6
.LBB30_21:                              ;   Parent Loop BB30_7 Depth=1
                                        ; =>  This Loop Header: Depth=2
                                        ;       Child Loop BB30_24 Depth 3
	s_mov_b64 s[24:25], -1
	s_and_b64 vcc, exec, s[2:3]
	s_mov_b64 s[26:27], -1
	s_cbranch_vccnz .LBB30_29
; %bb.22:                               ;   in Loop: Header=BB30_21 Depth=2
	v_ashrrev_i32_e32 v3, 31, v2
	v_lshlrev_b64 v[3:4], 2, v[2:3]
	v_mov_b32_e32 v17, s19
	v_add_co_u32_e32 v3, vcc, s18, v3
	v_addc_co_u32_e32 v4, vcc, v17, v4, vcc
	global_load_dword v3, v[3:4], off
	s_mov_b64 s[28:29], 0
	s_mov_b32 s41, s9
                                        ; implicit-def: $sgpr26_sgpr27
	s_waitcnt vmcnt(0)
	v_subrev_u32_e32 v3, s38, v3
	v_mul_lo_u32 v17, v3, s9
	v_mov_b32_e32 v3, v16
	s_branch .LBB30_24
.LBB30_23:                              ;   in Loop: Header=BB30_24 Depth=3
	s_or_b64 exec, exec, s[36:37]
	s_xor_b64 s[34:35], s[34:35], -1
	s_and_b64 s[30:31], exec, s[30:31]
	s_or_b64 s[28:29], s[30:31], s[28:29]
	s_andn2_b64 s[26:27], s[26:27], exec
	s_and_b64 s[30:31], s[34:35], exec
	s_or_b64 s[26:27], s[26:27], s[30:31]
	s_andn2_b64 exec, exec, s[28:29]
	s_cbranch_execz .LBB30_28
.LBB30_24:                              ;   Parent Loop BB30_7 Depth=1
                                        ;     Parent Loop BB30_21 Depth=2
                                        ; =>    This Inner Loop Header: Depth=3
	v_sub_u32_e32 v4, 0, v17
	v_max_i32_e32 v4, v17, v4
	v_mul_hi_u32 v18, v4, v10
	v_ashrrev_i32_e32 v20, 31, v17
	v_xor_b32_e32 v20, s39, v20
	v_mul_lo_u32 v19, v18, s10
	v_add_u32_e32 v21, 1, v18
	v_sub_u32_e32 v4, v4, v19
	v_cmp_le_u32_e32 vcc, s10, v4
	v_subrev_u32_e32 v19, s10, v4
	v_cndmask_b32_e32 v18, v18, v21, vcc
	v_cndmask_b32_e32 v4, v4, v19, vcc
	v_add_u32_e32 v19, 1, v18
	v_cmp_le_u32_e32 vcc, s10, v4
	v_cndmask_b32_e32 v4, v18, v19, vcc
	v_xor_b32_e32 v4, v4, v20
	v_sub_u32_e32 v18, v4, v20
	v_cmp_eq_u32_e32 vcc, v18, v13
	s_and_saveexec_b64 s[30:31], vcc
	s_cbranch_execz .LBB30_26
; %bb.25:                               ;   in Loop: Header=BB30_24 Depth=3
	v_ashrrev_i32_e32 v4, 31, v3
	v_lshlrev_b64 v[19:20], 3, v[3:4]
	v_mov_b32_e32 v4, s17
	v_add_co_u32_e32 v19, vcc, s16, v19
	v_addc_co_u32_e32 v20, vcc, v4, v20, vcc
	global_load_dwordx2 v[19:20], v[19:20], off
	v_sub_u32_e32 v4, v17, v15
	v_add_u32_e32 v21, v4, v14
	v_ashrrev_i32_e32 v22, 31, v21
	v_lshlrev_b64 v[21:22], 3, v[21:22]
	v_mov_b32_e32 v4, s15
	v_add_co_u32_e32 v21, vcc, s14, v21
	v_addc_co_u32_e32 v22, vcc, v4, v22, vcc
	s_waitcnt vmcnt(0)
	global_store_dwordx2 v[21:22], v[19:20], off
.LBB30_26:                              ;   in Loop: Header=BB30_24 Depth=3
	s_or_b64 exec, exec, s[30:31]
	v_cmp_le_i32_e32 vcc, v18, v13
	s_mov_b64 s[30:31], -1
	s_mov_b64 s[34:35], -1
	s_and_saveexec_b64 s[36:37], vcc
	s_cbranch_execz .LBB30_23
; %bb.27:                               ;   in Loop: Header=BB30_24 Depth=3
	s_add_i32 s41, s41, -1
	s_cmp_eq_u32 s41, 0
	s_cselect_b64 s[30:31], -1, 0
	v_add_u32_e32 v17, 1, v17
	v_add_u32_e32 v3, 1, v3
	s_xor_b64 s[34:35], exec, -1
	s_orn2_b64 s[30:31], s[30:31], exec
	s_branch .LBB30_23
.LBB30_28:                              ;   in Loop: Header=BB30_21 Depth=2
	s_or_b64 exec, exec, s[28:29]
.LBB30_29:                              ;   in Loop: Header=BB30_21 Depth=2
	s_and_saveexec_b64 s[28:29], s[26:27]
	s_cbranch_execz .LBB30_20
; %bb.30:                               ;   in Loop: Header=BB30_21 Depth=2
	v_add_u32_e32 v2, 1, v2
	v_cmp_ge_i32_e32 vcc, v2, v6
	v_add_u32_e32 v16, s40, v16
	s_orn2_b64 s[24:25], vcc, exec
	s_branch .LBB30_20
.LBB30_31:
	s_endpgm
	.section	.rodata,"a",@progbits
	.p2align	6, 0x0
	.amdhsa_kernel _ZN9rocsparseL23gebsr2gebsr_fast_kernelIL20rocsparse_direction_0ELi16ELi8E21rocsparse_complex_numIfEEEvii21rocsparse_index_base_PKT2_PKiS9_iiiiS4_PS5_PiSB_ii
		.amdhsa_group_segment_fixed_size 0
		.amdhsa_private_segment_fixed_size 0
		.amdhsa_kernarg_size 96
		.amdhsa_user_sgpr_count 6
		.amdhsa_user_sgpr_private_segment_buffer 1
		.amdhsa_user_sgpr_dispatch_ptr 0
		.amdhsa_user_sgpr_queue_ptr 0
		.amdhsa_user_sgpr_kernarg_segment_ptr 1
		.amdhsa_user_sgpr_dispatch_id 0
		.amdhsa_user_sgpr_flat_scratch_init 0
		.amdhsa_user_sgpr_private_segment_size 0
		.amdhsa_uses_dynamic_stack 0
		.amdhsa_system_sgpr_private_segment_wavefront_offset 0
		.amdhsa_system_sgpr_workgroup_id_x 1
		.amdhsa_system_sgpr_workgroup_id_y 0
		.amdhsa_system_sgpr_workgroup_id_z 0
		.amdhsa_system_sgpr_workgroup_info 0
		.amdhsa_system_vgpr_workitem_id 0
		.amdhsa_next_free_vgpr 23
		.amdhsa_next_free_sgpr 42
		.amdhsa_reserve_vcc 1
		.amdhsa_reserve_flat_scratch 0
		.amdhsa_float_round_mode_32 0
		.amdhsa_float_round_mode_16_64 0
		.amdhsa_float_denorm_mode_32 3
		.amdhsa_float_denorm_mode_16_64 3
		.amdhsa_dx10_clamp 1
		.amdhsa_ieee_mode 1
		.amdhsa_fp16_overflow 0
		.amdhsa_exception_fp_ieee_invalid_op 0
		.amdhsa_exception_fp_denorm_src 0
		.amdhsa_exception_fp_ieee_div_zero 0
		.amdhsa_exception_fp_ieee_overflow 0
		.amdhsa_exception_fp_ieee_underflow 0
		.amdhsa_exception_fp_ieee_inexact 0
		.amdhsa_exception_int_div_zero 0
	.end_amdhsa_kernel
	.section	.text._ZN9rocsparseL23gebsr2gebsr_fast_kernelIL20rocsparse_direction_0ELi16ELi8E21rocsparse_complex_numIfEEEvii21rocsparse_index_base_PKT2_PKiS9_iiiiS4_PS5_PiSB_ii,"axG",@progbits,_ZN9rocsparseL23gebsr2gebsr_fast_kernelIL20rocsparse_direction_0ELi16ELi8E21rocsparse_complex_numIfEEEvii21rocsparse_index_base_PKT2_PKiS9_iiiiS4_PS5_PiSB_ii,comdat
.Lfunc_end30:
	.size	_ZN9rocsparseL23gebsr2gebsr_fast_kernelIL20rocsparse_direction_0ELi16ELi8E21rocsparse_complex_numIfEEEvii21rocsparse_index_base_PKT2_PKiS9_iiiiS4_PS5_PiSB_ii, .Lfunc_end30-_ZN9rocsparseL23gebsr2gebsr_fast_kernelIL20rocsparse_direction_0ELi16ELi8E21rocsparse_complex_numIfEEEvii21rocsparse_index_base_PKT2_PKiS9_iiiiS4_PS5_PiSB_ii
                                        ; -- End function
	.set _ZN9rocsparseL23gebsr2gebsr_fast_kernelIL20rocsparse_direction_0ELi16ELi8E21rocsparse_complex_numIfEEEvii21rocsparse_index_base_PKT2_PKiS9_iiiiS4_PS5_PiSB_ii.num_vgpr, 23
	.set _ZN9rocsparseL23gebsr2gebsr_fast_kernelIL20rocsparse_direction_0ELi16ELi8E21rocsparse_complex_numIfEEEvii21rocsparse_index_base_PKT2_PKiS9_iiiiS4_PS5_PiSB_ii.num_agpr, 0
	.set _ZN9rocsparseL23gebsr2gebsr_fast_kernelIL20rocsparse_direction_0ELi16ELi8E21rocsparse_complex_numIfEEEvii21rocsparse_index_base_PKT2_PKiS9_iiiiS4_PS5_PiSB_ii.numbered_sgpr, 42
	.set _ZN9rocsparseL23gebsr2gebsr_fast_kernelIL20rocsparse_direction_0ELi16ELi8E21rocsparse_complex_numIfEEEvii21rocsparse_index_base_PKT2_PKiS9_iiiiS4_PS5_PiSB_ii.num_named_barrier, 0
	.set _ZN9rocsparseL23gebsr2gebsr_fast_kernelIL20rocsparse_direction_0ELi16ELi8E21rocsparse_complex_numIfEEEvii21rocsparse_index_base_PKT2_PKiS9_iiiiS4_PS5_PiSB_ii.private_seg_size, 0
	.set _ZN9rocsparseL23gebsr2gebsr_fast_kernelIL20rocsparse_direction_0ELi16ELi8E21rocsparse_complex_numIfEEEvii21rocsparse_index_base_PKT2_PKiS9_iiiiS4_PS5_PiSB_ii.uses_vcc, 1
	.set _ZN9rocsparseL23gebsr2gebsr_fast_kernelIL20rocsparse_direction_0ELi16ELi8E21rocsparse_complex_numIfEEEvii21rocsparse_index_base_PKT2_PKiS9_iiiiS4_PS5_PiSB_ii.uses_flat_scratch, 0
	.set _ZN9rocsparseL23gebsr2gebsr_fast_kernelIL20rocsparse_direction_0ELi16ELi8E21rocsparse_complex_numIfEEEvii21rocsparse_index_base_PKT2_PKiS9_iiiiS4_PS5_PiSB_ii.has_dyn_sized_stack, 0
	.set _ZN9rocsparseL23gebsr2gebsr_fast_kernelIL20rocsparse_direction_0ELi16ELi8E21rocsparse_complex_numIfEEEvii21rocsparse_index_base_PKT2_PKiS9_iiiiS4_PS5_PiSB_ii.has_recursion, 0
	.set _ZN9rocsparseL23gebsr2gebsr_fast_kernelIL20rocsparse_direction_0ELi16ELi8E21rocsparse_complex_numIfEEEvii21rocsparse_index_base_PKT2_PKiS9_iiiiS4_PS5_PiSB_ii.has_indirect_call, 0
	.section	.AMDGPU.csdata,"",@progbits
; Kernel info:
; codeLenInByte = 1520
; TotalNumSgprs: 46
; NumVgprs: 23
; ScratchSize: 0
; MemoryBound: 0
; FloatMode: 240
; IeeeMode: 1
; LDSByteSize: 0 bytes/workgroup (compile time only)
; SGPRBlocks: 5
; VGPRBlocks: 5
; NumSGPRsForWavesPerEU: 46
; NumVGPRsForWavesPerEU: 23
; Occupancy: 10
; WaveLimiterHint : 0
; COMPUTE_PGM_RSRC2:SCRATCH_EN: 0
; COMPUTE_PGM_RSRC2:USER_SGPR: 6
; COMPUTE_PGM_RSRC2:TRAP_HANDLER: 0
; COMPUTE_PGM_RSRC2:TGID_X_EN: 1
; COMPUTE_PGM_RSRC2:TGID_Y_EN: 0
; COMPUTE_PGM_RSRC2:TGID_Z_EN: 0
; COMPUTE_PGM_RSRC2:TIDIG_COMP_CNT: 0
	.section	.text._ZN9rocsparseL23gebsr2gebsr_fast_kernelIL20rocsparse_direction_0ELi16ELi16E21rocsparse_complex_numIfEEEvii21rocsparse_index_base_PKT2_PKiS9_iiiiS4_PS5_PiSB_ii,"axG",@progbits,_ZN9rocsparseL23gebsr2gebsr_fast_kernelIL20rocsparse_direction_0ELi16ELi16E21rocsparse_complex_numIfEEEvii21rocsparse_index_base_PKT2_PKiS9_iiiiS4_PS5_PiSB_ii,comdat
	.globl	_ZN9rocsparseL23gebsr2gebsr_fast_kernelIL20rocsparse_direction_0ELi16ELi16E21rocsparse_complex_numIfEEEvii21rocsparse_index_base_PKT2_PKiS9_iiiiS4_PS5_PiSB_ii ; -- Begin function _ZN9rocsparseL23gebsr2gebsr_fast_kernelIL20rocsparse_direction_0ELi16ELi16E21rocsparse_complex_numIfEEEvii21rocsparse_index_base_PKT2_PKiS9_iiiiS4_PS5_PiSB_ii
	.p2align	8
	.type	_ZN9rocsparseL23gebsr2gebsr_fast_kernelIL20rocsparse_direction_0ELi16ELi16E21rocsparse_complex_numIfEEEvii21rocsparse_index_base_PKT2_PKiS9_iiiiS4_PS5_PiSB_ii,@function
_ZN9rocsparseL23gebsr2gebsr_fast_kernelIL20rocsparse_direction_0ELi16ELi16E21rocsparse_complex_numIfEEEvii21rocsparse_index_base_PKT2_PKiS9_iiiiS4_PS5_PiSB_ii: ; @_ZN9rocsparseL23gebsr2gebsr_fast_kernelIL20rocsparse_direction_0ELi16ELi16E21rocsparse_complex_numIfEEEvii21rocsparse_index_base_PKT2_PKiS9_iiiiS4_PS5_PiSB_ii
; %bb.0:
	s_load_dwordx4 s[8:11], s[4:5], 0x28
	s_load_dword s33, s[4:5], 0x38
	s_load_dwordx2 s[12:13], s[4:5], 0x58
	s_load_dword s3, s[4:5], 0x0
	s_load_dword s38, s[4:5], 0x8
	s_mov_b32 s39, 0
	s_waitcnt lgkmcnt(0)
	s_abs_i32 s2, s8
	v_cvt_f32_u32_e32 v1, s2
	s_sub_i32 s0, 0, s2
	v_cmp_gt_i32_e32 vcc, s12, v0
	v_mov_b32_e32 v5, 0
	v_rcp_iflag_f32_e32 v1, v1
	v_mul_f32_e32 v1, 0x4f7ffffe, v1
	v_cvt_u32_f32_e32 v2, v1
	v_mul_lo_u32 v1, s0, v2
	s_mul_i32 s0, s12, s6
	v_mul_hi_u32 v3, v2, v1
	v_add_u32_e32 v1, s0, v0
	v_sub_u32_e32 v4, 0, v1
	v_max_i32_e32 v6, v1, v4
	v_add_u32_e32 v2, v2, v3
	v_mul_hi_u32 v2, v6, v2
	v_xor_b32_e32 v4, s8, v1
	v_ashrrev_i32_e32 v4, 31, v4
	v_mul_lo_u32 v3, v2, s2
	v_add_u32_e32 v7, 1, v2
	v_sub_u32_e32 v3, v6, v3
	v_cmp_le_u32_e64 s[0:1], s2, v3
	v_subrev_u32_e32 v6, s2, v3
	v_cndmask_b32_e64 v2, v2, v7, s[0:1]
	v_cndmask_b32_e64 v3, v3, v6, s[0:1]
	v_add_u32_e32 v6, 1, v2
	v_cmp_le_u32_e64 s[0:1], s2, v3
	v_cndmask_b32_e64 v2, v2, v6, s[0:1]
	v_xor_b32_e32 v7, v2, v4
	v_sub_u32_e32 v2, v7, v4
	v_cmp_gt_i32_e64 s[0:1], s3, v2
	s_and_b64 s[2:3], vcc, s[0:1]
	v_mov_b32_e32 v6, 0
	s_and_saveexec_b64 s[0:1], s[2:3]
	s_cbranch_execnz .LBB31_3
; %bb.1:
	s_or_b64 exec, exec, s[0:1]
	s_cmp_ge_i32 s6, s10
	s_cbranch_scc0 .LBB31_4
.LBB31_2:
	s_cmp_lt_i32 s11, 1
	s_cbranch_scc0 .LBB31_5
	s_branch .LBB31_31
.LBB31_3:
	s_load_dwordx2 s[2:3], s[4:5], 0x18
	v_ashrrev_i32_e32 v3, 31, v2
	v_lshlrev_b64 v[2:3], 2, v[2:3]
	s_waitcnt lgkmcnt(0)
	v_mov_b32_e32 v5, s3
	v_add_co_u32_e32 v2, vcc, s2, v2
	v_addc_co_u32_e32 v3, vcc, v5, v3, vcc
	global_load_dwordx2 v[2:3], v[2:3], off
	s_waitcnt vmcnt(0)
	v_subrev_u32_e32 v6, s38, v2
	v_subrev_u32_e32 v5, s38, v3
	s_or_b64 exec, exec, s[0:1]
	s_cmp_ge_i32 s6, s10
	s_cbranch_scc1 .LBB31_2
.LBB31_4:
	s_load_dwordx2 s[0:1], s[4:5], 0x48
	s_ashr_i32 s7, s6, 31
	s_lshl_b64 s[2:3], s[6:7], 2
	s_waitcnt lgkmcnt(0)
	s_add_u32 s0, s0, s2
	s_addc_u32 s1, s1, s3
	s_load_dword s0, s[0:1], 0x0
	s_waitcnt lgkmcnt(0)
	s_sub_i32 s39, s0, s33
	s_cmp_lt_i32 s11, 1
	s_cbranch_scc1 .LBB31_31
.LBB31_5:
	s_cmp_gt_i32 s9, 0
	s_cselect_b64 s[2:3], -1, 0
	s_abs_i32 s10, s13
	v_cvt_f32_u32_e32 v2, s10
	s_load_dwordx2 s[6:7], s[4:5], 0x50
	s_load_dwordx2 s[14:15], s[4:5], 0x40
	;; [unrolled: 1-line block ×4, first 2 shown]
	s_sub_i32 s4, 0, s10
	v_mbcnt_lo_u32_b32 v3, -1, 0
	v_rcp_iflag_f32_e32 v2, v2
	v_mbcnt_hi_u32_b32 v3, -1, v3
	v_cmp_eq_u32_e64 s[0:1], 15, v0
	v_sub_u32_e32 v7, v4, v7
	v_mul_f32_e32 v2, 0x4f7ffffe, v2
	v_cvt_u32_f32_e32 v2, v2
	s_mul_i32 s40, s9, s8
	v_mov_b32_e32 v4, 0
	s_add_i32 s41, s39, -1
	v_mul_lo_u32 v8, s4, v2
	s_ashr_i32 s42, s13, 31
	s_mov_b64 s[4:5], 0
	v_mov_b32_e32 v10, 0
	v_mul_hi_u32 v9, v2, v8
	v_lshl_or_b32 v8, v3, 2, 60
	v_add_u32_e32 v9, v2, v9
	v_cndmask_b32_e64 v2, 0, 1, s[2:3]
	v_cmp_ne_u32_e64 s[2:3], 1, v2
	s_branch .LBB31_7
.LBB31_6:                               ;   in Loop: Header=BB31_7 Depth=1
	s_or_b64 exec, exec, s[20:21]
	s_waitcnt lgkmcnt(0)
	v_add_u32_e32 v4, 1, v11
	v_cmp_le_i32_e32 vcc, s11, v4
	s_or_b64 s[4:5], vcc, s[4:5]
	s_andn2_b64 exec, exec, s[4:5]
	s_cbranch_execz .LBB31_31
.LBB31_7:                               ; =>This Loop Header: Depth=1
                                        ;     Child Loop BB31_11 Depth 2
                                        ;       Child Loop BB31_13 Depth 3
                                        ;     Child Loop BB31_21 Depth 2
                                        ;       Child Loop BB31_24 Depth 3
	v_cmp_lt_i32_e32 vcc, v6, v5
	v_mov_b32_e32 v11, s11
	s_and_saveexec_b64 s[20:21], vcc
	s_cbranch_execz .LBB31_16
; %bb.8:                                ;   in Loop: Header=BB31_7 Depth=1
	s_mov_b64 s[22:23], 0
	v_mov_b32_e32 v11, s11
	v_mov_b32_e32 v2, v6
	s_branch .LBB31_11
.LBB31_9:                               ;   in Loop: Header=BB31_11 Depth=2
	s_mov_b64 s[24:25], 0
.LBB31_10:                              ;   in Loop: Header=BB31_11 Depth=2
	v_add_u32_e32 v2, 1, v2
	v_cmp_ge_i32_e32 vcc, v2, v5
	s_or_b64 s[24:25], s[24:25], vcc
	s_and_b64 s[24:25], exec, s[24:25]
	s_or_b64 s[22:23], s[24:25], s[22:23]
	s_andn2_b64 exec, exec, s[22:23]
	s_cbranch_execz .LBB31_15
.LBB31_11:                              ;   Parent Loop BB31_7 Depth=1
                                        ; =>  This Loop Header: Depth=2
                                        ;       Child Loop BB31_13 Depth 3
	s_and_b64 vcc, exec, s[2:3]
	s_cbranch_vccnz .LBB31_9
; %bb.12:                               ;   in Loop: Header=BB31_11 Depth=2
	v_ashrrev_i32_e32 v3, 31, v2
	v_lshlrev_b64 v[12:13], 2, v[2:3]
	s_waitcnt lgkmcnt(0)
	v_mov_b32_e32 v3, s19
	v_add_co_u32_e32 v12, vcc, s18, v12
	v_addc_co_u32_e32 v13, vcc, v3, v13, vcc
	global_load_dword v3, v[12:13], off
	s_mov_b32 s30, 0
	s_mov_b64 s[28:29], 0
	s_mov_b64 s[26:27], 0
                                        ; implicit-def: $sgpr24_sgpr25
	s_waitcnt vmcnt(0)
	v_subrev_u32_e32 v3, s38, v3
	v_mul_lo_u32 v3, v3, s9
.LBB31_13:                              ;   Parent Loop BB31_7 Depth=1
                                        ;     Parent Loop BB31_11 Depth=2
                                        ; =>    This Inner Loop Header: Depth=3
	v_add_u32_e32 v12, s30, v3
	v_sub_u32_e32 v14, 0, v12
	v_ashrrev_i32_e32 v13, 31, v12
	v_max_i32_e32 v12, v12, v14
	v_mul_hi_u32 v14, v12, v9
	v_xor_b32_e32 v13, s42, v13
	s_add_i32 s30, s30, 1
	v_mul_lo_u32 v15, v14, s10
	v_add_u32_e32 v16, 1, v14
	v_sub_u32_e32 v12, v12, v15
	v_cmp_le_u32_e32 vcc, s10, v12
	v_subrev_u32_e32 v15, s10, v12
	v_cndmask_b32_e32 v14, v14, v16, vcc
	v_cndmask_b32_e32 v12, v12, v15, vcc
	v_add_u32_e32 v15, 1, v14
	v_cmp_le_u32_e32 vcc, s10, v12
	v_cndmask_b32_e32 v12, v14, v15, vcc
	v_xor_b32_e32 v12, v12, v13
	v_sub_u32_e32 v12, v12, v13
	v_cmp_ge_i32_e32 vcc, v12, v4
	s_or_b64 s[28:29], vcc, s[28:29]
	s_cmp_ge_i32 s30, s9
	s_cselect_b64 s[34:35], -1, 0
	s_or_b64 s[34:35], vcc, s[34:35]
	s_and_b64 s[34:35], exec, s[34:35]
	s_or_b64 s[26:27], s[34:35], s[26:27]
	s_andn2_b64 s[24:25], s[24:25], exec
	s_and_b64 s[34:35], s[28:29], exec
	v_cndmask_b32_e32 v11, v11, v12, vcc
	v_cndmask_b32_e32 v6, v6, v2, vcc
	s_or_b64 s[24:25], s[24:25], s[34:35]
	s_andn2_b64 exec, exec, s[26:27]
	s_cbranch_execnz .LBB31_13
; %bb.14:                               ;   in Loop: Header=BB31_11 Depth=2
	s_or_b64 exec, exec, s[26:27]
	s_branch .LBB31_10
.LBB31_15:                              ;   in Loop: Header=BB31_7 Depth=1
	s_or_b64 exec, exec, s[22:23]
.LBB31_16:                              ;   in Loop: Header=BB31_7 Depth=1
	s_or_b64 exec, exec, s[20:21]
	v_mov_b32_dpp v2, v11 row_shr:1 row_mask:0xf bank_mask:0xf
	v_min_i32_e32 v2, v2, v11
	s_nop 1
	v_mov_b32_dpp v3, v2 row_shr:2 row_mask:0xf bank_mask:0xf
	v_min_i32_e32 v2, v3, v2
	s_nop 1
	;; [unrolled: 3-line block ×3, first 2 shown]
	v_mov_b32_dpp v3, v2 row_shr:8 row_mask:0xf bank_mask:0xc
	v_min_i32_e32 v2, v3, v2
	v_cmp_gt_i32_e32 vcc, s11, v2
	s_and_b64 s[22:23], s[0:1], vcc
	s_and_saveexec_b64 s[20:21], s[22:23]
	s_cbranch_execz .LBB31_18
; %bb.17:                               ;   in Loop: Header=BB31_7 Depth=1
	v_add_u32_e32 v3, s39, v10
	v_ashrrev_i32_e32 v4, 31, v3
	v_lshlrev_b64 v[3:4], 2, v[3:4]
	v_add_u32_e32 v11, 1, v10
	s_waitcnt lgkmcnt(0)
	v_mov_b32_e32 v10, s7
	v_add_co_u32_e32 v3, vcc, s6, v3
	v_addc_co_u32_e32 v4, vcc, v10, v4, vcc
	v_add_u32_e32 v10, s33, v2
	global_store_dword v[3:4], v10, off
	v_mov_b32_e32 v10, v11
.LBB31_18:                              ;   in Loop: Header=BB31_7 Depth=1
	s_or_b64 exec, exec, s[20:21]
	ds_bpermute_b32 v11, v8, v2
	ds_bpermute_b32 v10, v8, v10
	v_cmp_lt_i32_e32 vcc, v6, v5
	s_and_saveexec_b64 s[20:21], vcc
	s_cbranch_execz .LBB31_6
; %bb.19:                               ;   in Loop: Header=BB31_7 Depth=1
	s_waitcnt lgkmcnt(0)
	v_add_u32_e32 v2, s41, v10
	v_mad_u64_u32 v[2:3], s[22:23], v2, s12, v[0:1]
	v_add_u32_e32 v3, v7, v6
	v_mul_lo_u32 v13, v11, s13
	v_mad_u64_u32 v[3:4], s[22:23], s8, v3, v[1:2]
	v_mul_lo_u32 v12, v2, s13
	s_mov_b64 s[22:23], 0
	v_mul_lo_u32 v14, s9, v3
	v_mov_b32_e32 v2, v6
	s_branch .LBB31_21
.LBB31_20:                              ;   in Loop: Header=BB31_21 Depth=2
	s_or_b64 exec, exec, s[28:29]
	s_and_b64 s[24:25], exec, s[24:25]
	s_or_b64 s[22:23], s[24:25], s[22:23]
	s_andn2_b64 exec, exec, s[22:23]
	s_cbranch_execz .LBB31_6
.LBB31_21:                              ;   Parent Loop BB31_7 Depth=1
                                        ; =>  This Loop Header: Depth=2
                                        ;       Child Loop BB31_24 Depth 3
	s_mov_b64 s[24:25], -1
	s_and_b64 vcc, exec, s[2:3]
	s_mov_b64 s[26:27], -1
	s_cbranch_vccnz .LBB31_29
; %bb.22:                               ;   in Loop: Header=BB31_21 Depth=2
	v_ashrrev_i32_e32 v3, 31, v2
	v_lshlrev_b64 v[3:4], 2, v[2:3]
	v_mov_b32_e32 v15, s19
	v_add_co_u32_e32 v3, vcc, s18, v3
	v_addc_co_u32_e32 v4, vcc, v15, v4, vcc
	global_load_dword v3, v[3:4], off
	s_mov_b64 s[28:29], 0
	s_mov_b32 s43, s9
                                        ; implicit-def: $sgpr26_sgpr27
	s_waitcnt vmcnt(0)
	v_subrev_u32_e32 v3, s38, v3
	v_mul_lo_u32 v15, v3, s9
	v_mov_b32_e32 v3, v14
	s_branch .LBB31_24
.LBB31_23:                              ;   in Loop: Header=BB31_24 Depth=3
	s_or_b64 exec, exec, s[36:37]
	s_xor_b64 s[34:35], s[34:35], -1
	s_and_b64 s[30:31], exec, s[30:31]
	s_or_b64 s[28:29], s[30:31], s[28:29]
	s_andn2_b64 s[26:27], s[26:27], exec
	s_and_b64 s[30:31], s[34:35], exec
	s_or_b64 s[26:27], s[26:27], s[30:31]
	s_andn2_b64 exec, exec, s[28:29]
	s_cbranch_execz .LBB31_28
.LBB31_24:                              ;   Parent Loop BB31_7 Depth=1
                                        ;     Parent Loop BB31_21 Depth=2
                                        ; =>    This Inner Loop Header: Depth=3
	v_sub_u32_e32 v4, 0, v15
	v_max_i32_e32 v4, v15, v4
	v_mul_hi_u32 v16, v4, v9
	v_ashrrev_i32_e32 v18, 31, v15
	v_xor_b32_e32 v18, s42, v18
	v_mul_lo_u32 v17, v16, s10
	v_add_u32_e32 v19, 1, v16
	v_sub_u32_e32 v4, v4, v17
	v_cmp_le_u32_e32 vcc, s10, v4
	v_subrev_u32_e32 v17, s10, v4
	v_cndmask_b32_e32 v16, v16, v19, vcc
	v_cndmask_b32_e32 v4, v4, v17, vcc
	v_add_u32_e32 v17, 1, v16
	v_cmp_le_u32_e32 vcc, s10, v4
	v_cndmask_b32_e32 v4, v16, v17, vcc
	v_xor_b32_e32 v4, v4, v18
	v_sub_u32_e32 v16, v4, v18
	v_cmp_eq_u32_e32 vcc, v16, v11
	s_and_saveexec_b64 s[30:31], vcc
	s_cbranch_execz .LBB31_26
; %bb.25:                               ;   in Loop: Header=BB31_24 Depth=3
	v_ashrrev_i32_e32 v4, 31, v3
	v_lshlrev_b64 v[17:18], 3, v[3:4]
	v_mov_b32_e32 v4, s17
	v_add_co_u32_e32 v17, vcc, s16, v17
	v_addc_co_u32_e32 v18, vcc, v4, v18, vcc
	global_load_dwordx2 v[17:18], v[17:18], off
	v_sub_u32_e32 v4, v15, v13
	v_add_u32_e32 v19, v4, v12
	v_ashrrev_i32_e32 v20, 31, v19
	v_lshlrev_b64 v[19:20], 3, v[19:20]
	v_mov_b32_e32 v4, s15
	v_add_co_u32_e32 v19, vcc, s14, v19
	v_addc_co_u32_e32 v20, vcc, v4, v20, vcc
	s_waitcnt vmcnt(0)
	global_store_dwordx2 v[19:20], v[17:18], off
.LBB31_26:                              ;   in Loop: Header=BB31_24 Depth=3
	s_or_b64 exec, exec, s[30:31]
	v_cmp_le_i32_e32 vcc, v16, v11
	s_mov_b64 s[30:31], -1
	s_mov_b64 s[34:35], -1
	s_and_saveexec_b64 s[36:37], vcc
	s_cbranch_execz .LBB31_23
; %bb.27:                               ;   in Loop: Header=BB31_24 Depth=3
	s_add_i32 s43, s43, -1
	s_cmp_eq_u32 s43, 0
	s_cselect_b64 s[30:31], -1, 0
	v_add_u32_e32 v15, 1, v15
	v_add_u32_e32 v3, 1, v3
	s_xor_b64 s[34:35], exec, -1
	s_orn2_b64 s[30:31], s[30:31], exec
	s_branch .LBB31_23
.LBB31_28:                              ;   in Loop: Header=BB31_21 Depth=2
	s_or_b64 exec, exec, s[28:29]
.LBB31_29:                              ;   in Loop: Header=BB31_21 Depth=2
	s_and_saveexec_b64 s[28:29], s[26:27]
	s_cbranch_execz .LBB31_20
; %bb.30:                               ;   in Loop: Header=BB31_21 Depth=2
	v_add_u32_e32 v2, 1, v2
	v_cmp_ge_i32_e32 vcc, v2, v5
	v_add_u32_e32 v14, s40, v14
	s_orn2_b64 s[24:25], vcc, exec
	s_branch .LBB31_20
.LBB31_31:
	s_endpgm
	.section	.rodata,"a",@progbits
	.p2align	6, 0x0
	.amdhsa_kernel _ZN9rocsparseL23gebsr2gebsr_fast_kernelIL20rocsparse_direction_0ELi16ELi16E21rocsparse_complex_numIfEEEvii21rocsparse_index_base_PKT2_PKiS9_iiiiS4_PS5_PiSB_ii
		.amdhsa_group_segment_fixed_size 0
		.amdhsa_private_segment_fixed_size 0
		.amdhsa_kernarg_size 96
		.amdhsa_user_sgpr_count 6
		.amdhsa_user_sgpr_private_segment_buffer 1
		.amdhsa_user_sgpr_dispatch_ptr 0
		.amdhsa_user_sgpr_queue_ptr 0
		.amdhsa_user_sgpr_kernarg_segment_ptr 1
		.amdhsa_user_sgpr_dispatch_id 0
		.amdhsa_user_sgpr_flat_scratch_init 0
		.amdhsa_user_sgpr_private_segment_size 0
		.amdhsa_uses_dynamic_stack 0
		.amdhsa_system_sgpr_private_segment_wavefront_offset 0
		.amdhsa_system_sgpr_workgroup_id_x 1
		.amdhsa_system_sgpr_workgroup_id_y 0
		.amdhsa_system_sgpr_workgroup_id_z 0
		.amdhsa_system_sgpr_workgroup_info 0
		.amdhsa_system_vgpr_workitem_id 0
		.amdhsa_next_free_vgpr 21
		.amdhsa_next_free_sgpr 44
		.amdhsa_reserve_vcc 1
		.amdhsa_reserve_flat_scratch 0
		.amdhsa_float_round_mode_32 0
		.amdhsa_float_round_mode_16_64 0
		.amdhsa_float_denorm_mode_32 3
		.amdhsa_float_denorm_mode_16_64 3
		.amdhsa_dx10_clamp 1
		.amdhsa_ieee_mode 1
		.amdhsa_fp16_overflow 0
		.amdhsa_exception_fp_ieee_invalid_op 0
		.amdhsa_exception_fp_denorm_src 0
		.amdhsa_exception_fp_ieee_div_zero 0
		.amdhsa_exception_fp_ieee_overflow 0
		.amdhsa_exception_fp_ieee_underflow 0
		.amdhsa_exception_fp_ieee_inexact 0
		.amdhsa_exception_int_div_zero 0
	.end_amdhsa_kernel
	.section	.text._ZN9rocsparseL23gebsr2gebsr_fast_kernelIL20rocsparse_direction_0ELi16ELi16E21rocsparse_complex_numIfEEEvii21rocsparse_index_base_PKT2_PKiS9_iiiiS4_PS5_PiSB_ii,"axG",@progbits,_ZN9rocsparseL23gebsr2gebsr_fast_kernelIL20rocsparse_direction_0ELi16ELi16E21rocsparse_complex_numIfEEEvii21rocsparse_index_base_PKT2_PKiS9_iiiiS4_PS5_PiSB_ii,comdat
.Lfunc_end31:
	.size	_ZN9rocsparseL23gebsr2gebsr_fast_kernelIL20rocsparse_direction_0ELi16ELi16E21rocsparse_complex_numIfEEEvii21rocsparse_index_base_PKT2_PKiS9_iiiiS4_PS5_PiSB_ii, .Lfunc_end31-_ZN9rocsparseL23gebsr2gebsr_fast_kernelIL20rocsparse_direction_0ELi16ELi16E21rocsparse_complex_numIfEEEvii21rocsparse_index_base_PKT2_PKiS9_iiiiS4_PS5_PiSB_ii
                                        ; -- End function
	.set _ZN9rocsparseL23gebsr2gebsr_fast_kernelIL20rocsparse_direction_0ELi16ELi16E21rocsparse_complex_numIfEEEvii21rocsparse_index_base_PKT2_PKiS9_iiiiS4_PS5_PiSB_ii.num_vgpr, 21
	.set _ZN9rocsparseL23gebsr2gebsr_fast_kernelIL20rocsparse_direction_0ELi16ELi16E21rocsparse_complex_numIfEEEvii21rocsparse_index_base_PKT2_PKiS9_iiiiS4_PS5_PiSB_ii.num_agpr, 0
	.set _ZN9rocsparseL23gebsr2gebsr_fast_kernelIL20rocsparse_direction_0ELi16ELi16E21rocsparse_complex_numIfEEEvii21rocsparse_index_base_PKT2_PKiS9_iiiiS4_PS5_PiSB_ii.numbered_sgpr, 44
	.set _ZN9rocsparseL23gebsr2gebsr_fast_kernelIL20rocsparse_direction_0ELi16ELi16E21rocsparse_complex_numIfEEEvii21rocsparse_index_base_PKT2_PKiS9_iiiiS4_PS5_PiSB_ii.num_named_barrier, 0
	.set _ZN9rocsparseL23gebsr2gebsr_fast_kernelIL20rocsparse_direction_0ELi16ELi16E21rocsparse_complex_numIfEEEvii21rocsparse_index_base_PKT2_PKiS9_iiiiS4_PS5_PiSB_ii.private_seg_size, 0
	.set _ZN9rocsparseL23gebsr2gebsr_fast_kernelIL20rocsparse_direction_0ELi16ELi16E21rocsparse_complex_numIfEEEvii21rocsparse_index_base_PKT2_PKiS9_iiiiS4_PS5_PiSB_ii.uses_vcc, 1
	.set _ZN9rocsparseL23gebsr2gebsr_fast_kernelIL20rocsparse_direction_0ELi16ELi16E21rocsparse_complex_numIfEEEvii21rocsparse_index_base_PKT2_PKiS9_iiiiS4_PS5_PiSB_ii.uses_flat_scratch, 0
	.set _ZN9rocsparseL23gebsr2gebsr_fast_kernelIL20rocsparse_direction_0ELi16ELi16E21rocsparse_complex_numIfEEEvii21rocsparse_index_base_PKT2_PKiS9_iiiiS4_PS5_PiSB_ii.has_dyn_sized_stack, 0
	.set _ZN9rocsparseL23gebsr2gebsr_fast_kernelIL20rocsparse_direction_0ELi16ELi16E21rocsparse_complex_numIfEEEvii21rocsparse_index_base_PKT2_PKiS9_iiiiS4_PS5_PiSB_ii.has_recursion, 0
	.set _ZN9rocsparseL23gebsr2gebsr_fast_kernelIL20rocsparse_direction_0ELi16ELi16E21rocsparse_complex_numIfEEEvii21rocsparse_index_base_PKT2_PKiS9_iiiiS4_PS5_PiSB_ii.has_indirect_call, 0
	.section	.AMDGPU.csdata,"",@progbits
; Kernel info:
; codeLenInByte = 1480
; TotalNumSgprs: 48
; NumVgprs: 21
; ScratchSize: 0
; MemoryBound: 0
; FloatMode: 240
; IeeeMode: 1
; LDSByteSize: 0 bytes/workgroup (compile time only)
; SGPRBlocks: 5
; VGPRBlocks: 5
; NumSGPRsForWavesPerEU: 48
; NumVGPRsForWavesPerEU: 21
; Occupancy: 10
; WaveLimiterHint : 0
; COMPUTE_PGM_RSRC2:SCRATCH_EN: 0
; COMPUTE_PGM_RSRC2:USER_SGPR: 6
; COMPUTE_PGM_RSRC2:TRAP_HANDLER: 0
; COMPUTE_PGM_RSRC2:TGID_X_EN: 1
; COMPUTE_PGM_RSRC2:TGID_Y_EN: 0
; COMPUTE_PGM_RSRC2:TGID_Z_EN: 0
; COMPUTE_PGM_RSRC2:TIDIG_COMP_CNT: 0
	.section	.text._ZN9rocsparseL23gebsr2gebsr_fast_kernelIL20rocsparse_direction_0ELi32ELi32E21rocsparse_complex_numIfEEEvii21rocsparse_index_base_PKT2_PKiS9_iiiiS4_PS5_PiSB_ii,"axG",@progbits,_ZN9rocsparseL23gebsr2gebsr_fast_kernelIL20rocsparse_direction_0ELi32ELi32E21rocsparse_complex_numIfEEEvii21rocsparse_index_base_PKT2_PKiS9_iiiiS4_PS5_PiSB_ii,comdat
	.globl	_ZN9rocsparseL23gebsr2gebsr_fast_kernelIL20rocsparse_direction_0ELi32ELi32E21rocsparse_complex_numIfEEEvii21rocsparse_index_base_PKT2_PKiS9_iiiiS4_PS5_PiSB_ii ; -- Begin function _ZN9rocsparseL23gebsr2gebsr_fast_kernelIL20rocsparse_direction_0ELi32ELi32E21rocsparse_complex_numIfEEEvii21rocsparse_index_base_PKT2_PKiS9_iiiiS4_PS5_PiSB_ii
	.p2align	8
	.type	_ZN9rocsparseL23gebsr2gebsr_fast_kernelIL20rocsparse_direction_0ELi32ELi32E21rocsparse_complex_numIfEEEvii21rocsparse_index_base_PKT2_PKiS9_iiiiS4_PS5_PiSB_ii,@function
_ZN9rocsparseL23gebsr2gebsr_fast_kernelIL20rocsparse_direction_0ELi32ELi32E21rocsparse_complex_numIfEEEvii21rocsparse_index_base_PKT2_PKiS9_iiiiS4_PS5_PiSB_ii: ; @_ZN9rocsparseL23gebsr2gebsr_fast_kernelIL20rocsparse_direction_0ELi32ELi32E21rocsparse_complex_numIfEEEvii21rocsparse_index_base_PKT2_PKiS9_iiiiS4_PS5_PiSB_ii
; %bb.0:
	s_load_dwordx4 s[8:11], s[4:5], 0x28
	s_load_dword s33, s[4:5], 0x38
	s_load_dwordx2 s[12:13], s[4:5], 0x58
	s_load_dword s3, s[4:5], 0x0
	s_load_dword s38, s[4:5], 0x8
	s_mov_b32 s39, 0
	s_waitcnt lgkmcnt(0)
	s_abs_i32 s2, s8
	v_cvt_f32_u32_e32 v1, s2
	s_sub_i32 s0, 0, s2
	v_cmp_gt_i32_e32 vcc, s12, v0
	v_mov_b32_e32 v5, 0
	v_rcp_iflag_f32_e32 v1, v1
	v_mul_f32_e32 v1, 0x4f7ffffe, v1
	v_cvt_u32_f32_e32 v2, v1
	v_mul_lo_u32 v1, s0, v2
	s_mul_i32 s0, s12, s6
	v_mul_hi_u32 v3, v2, v1
	v_add_u32_e32 v1, s0, v0
	v_sub_u32_e32 v4, 0, v1
	v_max_i32_e32 v6, v1, v4
	v_add_u32_e32 v2, v2, v3
	v_mul_hi_u32 v2, v6, v2
	v_xor_b32_e32 v4, s8, v1
	v_ashrrev_i32_e32 v4, 31, v4
	v_mul_lo_u32 v3, v2, s2
	v_add_u32_e32 v7, 1, v2
	v_sub_u32_e32 v3, v6, v3
	v_cmp_le_u32_e64 s[0:1], s2, v3
	v_subrev_u32_e32 v6, s2, v3
	v_cndmask_b32_e64 v2, v2, v7, s[0:1]
	v_cndmask_b32_e64 v3, v3, v6, s[0:1]
	v_add_u32_e32 v6, 1, v2
	v_cmp_le_u32_e64 s[0:1], s2, v3
	v_cndmask_b32_e64 v2, v2, v6, s[0:1]
	v_xor_b32_e32 v7, v2, v4
	v_sub_u32_e32 v2, v7, v4
	v_cmp_gt_i32_e64 s[0:1], s3, v2
	s_and_b64 s[2:3], vcc, s[0:1]
	v_mov_b32_e32 v6, 0
	s_and_saveexec_b64 s[0:1], s[2:3]
	s_cbranch_execnz .LBB32_3
; %bb.1:
	s_or_b64 exec, exec, s[0:1]
	s_cmp_ge_i32 s6, s10
	s_cbranch_scc0 .LBB32_4
.LBB32_2:
	s_cmp_lt_i32 s11, 1
	s_cbranch_scc0 .LBB32_5
	s_branch .LBB32_31
.LBB32_3:
	s_load_dwordx2 s[2:3], s[4:5], 0x18
	v_ashrrev_i32_e32 v3, 31, v2
	v_lshlrev_b64 v[2:3], 2, v[2:3]
	s_waitcnt lgkmcnt(0)
	v_mov_b32_e32 v5, s3
	v_add_co_u32_e32 v2, vcc, s2, v2
	v_addc_co_u32_e32 v3, vcc, v5, v3, vcc
	global_load_dwordx2 v[2:3], v[2:3], off
	s_waitcnt vmcnt(0)
	v_subrev_u32_e32 v6, s38, v2
	v_subrev_u32_e32 v5, s38, v3
	s_or_b64 exec, exec, s[0:1]
	s_cmp_ge_i32 s6, s10
	s_cbranch_scc1 .LBB32_2
.LBB32_4:
	s_load_dwordx2 s[0:1], s[4:5], 0x48
	s_ashr_i32 s7, s6, 31
	s_lshl_b64 s[2:3], s[6:7], 2
	s_waitcnt lgkmcnt(0)
	s_add_u32 s0, s0, s2
	s_addc_u32 s1, s1, s3
	s_load_dword s0, s[0:1], 0x0
	s_waitcnt lgkmcnt(0)
	s_sub_i32 s39, s0, s33
	s_cmp_lt_i32 s11, 1
	s_cbranch_scc1 .LBB32_31
.LBB32_5:
	s_cmp_gt_i32 s9, 0
	s_cselect_b64 s[2:3], -1, 0
	s_abs_i32 s10, s13
	v_cvt_f32_u32_e32 v2, s10
	s_load_dwordx2 s[6:7], s[4:5], 0x50
	s_load_dwordx2 s[14:15], s[4:5], 0x40
	;; [unrolled: 1-line block ×4, first 2 shown]
	s_sub_i32 s4, 0, s10
	v_sub_u32_e32 v7, v4, v7
	v_rcp_iflag_f32_e32 v2, v2
	v_mbcnt_lo_u32_b32 v3, -1, 0
	v_mov_b32_e32 v8, 0x7c
	v_mbcnt_hi_u32_b32 v3, -1, v3
	v_mul_f32_e32 v2, 0x4f7ffffe, v2
	v_cvt_u32_f32_e32 v2, v2
	v_cmp_eq_u32_e64 s[0:1], 31, v0
	s_mul_i32 s40, s9, s8
	s_add_i32 s41, s39, -1
	v_mul_lo_u32 v9, s4, v2
	s_ashr_i32 s42, s13, 31
	v_lshl_or_b32 v8, v3, 2, v8
	s_mov_b64 s[4:5], 0
	v_mul_hi_u32 v4, v2, v9
	v_mov_b32_e32 v10, 0
	v_add_u32_e32 v9, v2, v4
	v_cndmask_b32_e64 v2, 0, 1, s[2:3]
	v_mov_b32_e32 v4, 0
	v_cmp_ne_u32_e64 s[2:3], 1, v2
	s_branch .LBB32_7
.LBB32_6:                               ;   in Loop: Header=BB32_7 Depth=1
	s_or_b64 exec, exec, s[20:21]
	s_waitcnt lgkmcnt(0)
	v_add_u32_e32 v4, 1, v11
	v_cmp_le_i32_e32 vcc, s11, v4
	s_or_b64 s[4:5], vcc, s[4:5]
	s_andn2_b64 exec, exec, s[4:5]
	s_cbranch_execz .LBB32_31
.LBB32_7:                               ; =>This Loop Header: Depth=1
                                        ;     Child Loop BB32_11 Depth 2
                                        ;       Child Loop BB32_13 Depth 3
                                        ;     Child Loop BB32_21 Depth 2
                                        ;       Child Loop BB32_24 Depth 3
	v_cmp_lt_i32_e32 vcc, v6, v5
	v_mov_b32_e32 v11, s11
	s_and_saveexec_b64 s[20:21], vcc
	s_cbranch_execz .LBB32_16
; %bb.8:                                ;   in Loop: Header=BB32_7 Depth=1
	s_mov_b64 s[22:23], 0
	v_mov_b32_e32 v11, s11
	v_mov_b32_e32 v2, v6
	s_branch .LBB32_11
.LBB32_9:                               ;   in Loop: Header=BB32_11 Depth=2
	s_mov_b64 s[24:25], 0
.LBB32_10:                              ;   in Loop: Header=BB32_11 Depth=2
	v_add_u32_e32 v2, 1, v2
	v_cmp_ge_i32_e32 vcc, v2, v5
	s_or_b64 s[24:25], s[24:25], vcc
	s_and_b64 s[24:25], exec, s[24:25]
	s_or_b64 s[22:23], s[24:25], s[22:23]
	s_andn2_b64 exec, exec, s[22:23]
	s_cbranch_execz .LBB32_15
.LBB32_11:                              ;   Parent Loop BB32_7 Depth=1
                                        ; =>  This Loop Header: Depth=2
                                        ;       Child Loop BB32_13 Depth 3
	s_and_b64 vcc, exec, s[2:3]
	s_cbranch_vccnz .LBB32_9
; %bb.12:                               ;   in Loop: Header=BB32_11 Depth=2
	v_ashrrev_i32_e32 v3, 31, v2
	v_lshlrev_b64 v[12:13], 2, v[2:3]
	s_waitcnt lgkmcnt(0)
	v_mov_b32_e32 v3, s19
	v_add_co_u32_e32 v12, vcc, s18, v12
	v_addc_co_u32_e32 v13, vcc, v3, v13, vcc
	global_load_dword v3, v[12:13], off
	s_mov_b32 s30, 0
	s_mov_b64 s[28:29], 0
	s_mov_b64 s[26:27], 0
                                        ; implicit-def: $sgpr24_sgpr25
	s_waitcnt vmcnt(0)
	v_subrev_u32_e32 v3, s38, v3
	v_mul_lo_u32 v3, v3, s9
.LBB32_13:                              ;   Parent Loop BB32_7 Depth=1
                                        ;     Parent Loop BB32_11 Depth=2
                                        ; =>    This Inner Loop Header: Depth=3
	v_add_u32_e32 v12, s30, v3
	v_sub_u32_e32 v14, 0, v12
	v_ashrrev_i32_e32 v13, 31, v12
	v_max_i32_e32 v12, v12, v14
	v_mul_hi_u32 v14, v12, v9
	v_xor_b32_e32 v13, s42, v13
	s_add_i32 s30, s30, 1
	v_mul_lo_u32 v15, v14, s10
	v_add_u32_e32 v16, 1, v14
	v_sub_u32_e32 v12, v12, v15
	v_cmp_le_u32_e32 vcc, s10, v12
	v_subrev_u32_e32 v15, s10, v12
	v_cndmask_b32_e32 v14, v14, v16, vcc
	v_cndmask_b32_e32 v12, v12, v15, vcc
	v_add_u32_e32 v15, 1, v14
	v_cmp_le_u32_e32 vcc, s10, v12
	v_cndmask_b32_e32 v12, v14, v15, vcc
	v_xor_b32_e32 v12, v12, v13
	v_sub_u32_e32 v12, v12, v13
	v_cmp_ge_i32_e32 vcc, v12, v4
	s_or_b64 s[28:29], vcc, s[28:29]
	s_cmp_ge_i32 s30, s9
	s_cselect_b64 s[34:35], -1, 0
	s_or_b64 s[34:35], vcc, s[34:35]
	s_and_b64 s[34:35], exec, s[34:35]
	s_or_b64 s[26:27], s[34:35], s[26:27]
	s_andn2_b64 s[24:25], s[24:25], exec
	s_and_b64 s[34:35], s[28:29], exec
	v_cndmask_b32_e32 v11, v11, v12, vcc
	v_cndmask_b32_e32 v6, v6, v2, vcc
	s_or_b64 s[24:25], s[24:25], s[34:35]
	s_andn2_b64 exec, exec, s[26:27]
	s_cbranch_execnz .LBB32_13
; %bb.14:                               ;   in Loop: Header=BB32_11 Depth=2
	s_or_b64 exec, exec, s[26:27]
	s_branch .LBB32_10
.LBB32_15:                              ;   in Loop: Header=BB32_7 Depth=1
	s_or_b64 exec, exec, s[22:23]
.LBB32_16:                              ;   in Loop: Header=BB32_7 Depth=1
	s_or_b64 exec, exec, s[20:21]
	v_mov_b32_dpp v2, v11 row_shr:1 row_mask:0xf bank_mask:0xf
	v_min_i32_e32 v2, v2, v11
	s_nop 1
	v_mov_b32_dpp v3, v2 row_shr:2 row_mask:0xf bank_mask:0xf
	v_min_i32_e32 v2, v3, v2
	s_nop 1
	;; [unrolled: 3-line block ×4, first 2 shown]
	v_mov_b32_dpp v3, v2 row_bcast:15 row_mask:0xa bank_mask:0xf
	v_min_i32_e32 v2, v3, v2
	v_cmp_gt_i32_e32 vcc, s11, v2
	s_and_b64 s[22:23], s[0:1], vcc
	s_and_saveexec_b64 s[20:21], s[22:23]
	s_cbranch_execz .LBB32_18
; %bb.17:                               ;   in Loop: Header=BB32_7 Depth=1
	v_add_u32_e32 v3, s39, v10
	v_ashrrev_i32_e32 v4, 31, v3
	v_lshlrev_b64 v[3:4], 2, v[3:4]
	v_add_u32_e32 v11, 1, v10
	s_waitcnt lgkmcnt(0)
	v_mov_b32_e32 v10, s7
	v_add_co_u32_e32 v3, vcc, s6, v3
	v_addc_co_u32_e32 v4, vcc, v10, v4, vcc
	v_add_u32_e32 v10, s33, v2
	global_store_dword v[3:4], v10, off
	v_mov_b32_e32 v10, v11
.LBB32_18:                              ;   in Loop: Header=BB32_7 Depth=1
	s_or_b64 exec, exec, s[20:21]
	ds_bpermute_b32 v11, v8, v2
	ds_bpermute_b32 v10, v8, v10
	v_cmp_lt_i32_e32 vcc, v6, v5
	s_and_saveexec_b64 s[20:21], vcc
	s_cbranch_execz .LBB32_6
; %bb.19:                               ;   in Loop: Header=BB32_7 Depth=1
	s_waitcnt lgkmcnt(0)
	v_add_u32_e32 v2, s41, v10
	v_mad_u64_u32 v[2:3], s[22:23], v2, s12, v[0:1]
	v_add_u32_e32 v3, v7, v6
	v_mul_lo_u32 v13, v11, s13
	v_mad_u64_u32 v[3:4], s[22:23], s8, v3, v[1:2]
	v_mul_lo_u32 v12, v2, s13
	s_mov_b64 s[22:23], 0
	v_mul_lo_u32 v14, s9, v3
	v_mov_b32_e32 v2, v6
	s_branch .LBB32_21
.LBB32_20:                              ;   in Loop: Header=BB32_21 Depth=2
	s_or_b64 exec, exec, s[28:29]
	s_and_b64 s[24:25], exec, s[24:25]
	s_or_b64 s[22:23], s[24:25], s[22:23]
	s_andn2_b64 exec, exec, s[22:23]
	s_cbranch_execz .LBB32_6
.LBB32_21:                              ;   Parent Loop BB32_7 Depth=1
                                        ; =>  This Loop Header: Depth=2
                                        ;       Child Loop BB32_24 Depth 3
	s_mov_b64 s[24:25], -1
	s_and_b64 vcc, exec, s[2:3]
	s_mov_b64 s[26:27], -1
	s_cbranch_vccnz .LBB32_29
; %bb.22:                               ;   in Loop: Header=BB32_21 Depth=2
	v_ashrrev_i32_e32 v3, 31, v2
	v_lshlrev_b64 v[3:4], 2, v[2:3]
	v_mov_b32_e32 v15, s19
	v_add_co_u32_e32 v3, vcc, s18, v3
	v_addc_co_u32_e32 v4, vcc, v15, v4, vcc
	global_load_dword v3, v[3:4], off
	s_mov_b64 s[28:29], 0
	s_mov_b32 s43, s9
                                        ; implicit-def: $sgpr26_sgpr27
	s_waitcnt vmcnt(0)
	v_subrev_u32_e32 v3, s38, v3
	v_mul_lo_u32 v15, v3, s9
	v_mov_b32_e32 v3, v14
	s_branch .LBB32_24
.LBB32_23:                              ;   in Loop: Header=BB32_24 Depth=3
	s_or_b64 exec, exec, s[36:37]
	s_xor_b64 s[34:35], s[34:35], -1
	s_and_b64 s[30:31], exec, s[30:31]
	s_or_b64 s[28:29], s[30:31], s[28:29]
	s_andn2_b64 s[26:27], s[26:27], exec
	s_and_b64 s[30:31], s[34:35], exec
	s_or_b64 s[26:27], s[26:27], s[30:31]
	s_andn2_b64 exec, exec, s[28:29]
	s_cbranch_execz .LBB32_28
.LBB32_24:                              ;   Parent Loop BB32_7 Depth=1
                                        ;     Parent Loop BB32_21 Depth=2
                                        ; =>    This Inner Loop Header: Depth=3
	v_sub_u32_e32 v4, 0, v15
	v_max_i32_e32 v4, v15, v4
	v_mul_hi_u32 v16, v4, v9
	v_ashrrev_i32_e32 v18, 31, v15
	v_xor_b32_e32 v18, s42, v18
	v_mul_lo_u32 v17, v16, s10
	v_add_u32_e32 v19, 1, v16
	v_sub_u32_e32 v4, v4, v17
	v_cmp_le_u32_e32 vcc, s10, v4
	v_subrev_u32_e32 v17, s10, v4
	v_cndmask_b32_e32 v16, v16, v19, vcc
	v_cndmask_b32_e32 v4, v4, v17, vcc
	v_add_u32_e32 v17, 1, v16
	v_cmp_le_u32_e32 vcc, s10, v4
	v_cndmask_b32_e32 v4, v16, v17, vcc
	v_xor_b32_e32 v4, v4, v18
	v_sub_u32_e32 v16, v4, v18
	v_cmp_eq_u32_e32 vcc, v16, v11
	s_and_saveexec_b64 s[30:31], vcc
	s_cbranch_execz .LBB32_26
; %bb.25:                               ;   in Loop: Header=BB32_24 Depth=3
	v_ashrrev_i32_e32 v4, 31, v3
	v_lshlrev_b64 v[17:18], 3, v[3:4]
	v_mov_b32_e32 v4, s17
	v_add_co_u32_e32 v17, vcc, s16, v17
	v_addc_co_u32_e32 v18, vcc, v4, v18, vcc
	global_load_dwordx2 v[17:18], v[17:18], off
	v_sub_u32_e32 v4, v15, v13
	v_add_u32_e32 v19, v4, v12
	v_ashrrev_i32_e32 v20, 31, v19
	v_lshlrev_b64 v[19:20], 3, v[19:20]
	v_mov_b32_e32 v4, s15
	v_add_co_u32_e32 v19, vcc, s14, v19
	v_addc_co_u32_e32 v20, vcc, v4, v20, vcc
	s_waitcnt vmcnt(0)
	global_store_dwordx2 v[19:20], v[17:18], off
.LBB32_26:                              ;   in Loop: Header=BB32_24 Depth=3
	s_or_b64 exec, exec, s[30:31]
	v_cmp_le_i32_e32 vcc, v16, v11
	s_mov_b64 s[30:31], -1
	s_mov_b64 s[34:35], -1
	s_and_saveexec_b64 s[36:37], vcc
	s_cbranch_execz .LBB32_23
; %bb.27:                               ;   in Loop: Header=BB32_24 Depth=3
	s_add_i32 s43, s43, -1
	s_cmp_eq_u32 s43, 0
	s_cselect_b64 s[30:31], -1, 0
	v_add_u32_e32 v15, 1, v15
	v_add_u32_e32 v3, 1, v3
	s_xor_b64 s[34:35], exec, -1
	s_orn2_b64 s[30:31], s[30:31], exec
	s_branch .LBB32_23
.LBB32_28:                              ;   in Loop: Header=BB32_21 Depth=2
	s_or_b64 exec, exec, s[28:29]
.LBB32_29:                              ;   in Loop: Header=BB32_21 Depth=2
	s_and_saveexec_b64 s[28:29], s[26:27]
	s_cbranch_execz .LBB32_20
; %bb.30:                               ;   in Loop: Header=BB32_21 Depth=2
	v_add_u32_e32 v2, 1, v2
	v_cmp_ge_i32_e32 vcc, v2, v5
	v_add_u32_e32 v14, s40, v14
	s_orn2_b64 s[24:25], vcc, exec
	s_branch .LBB32_20
.LBB32_31:
	s_endpgm
	.section	.rodata,"a",@progbits
	.p2align	6, 0x0
	.amdhsa_kernel _ZN9rocsparseL23gebsr2gebsr_fast_kernelIL20rocsparse_direction_0ELi32ELi32E21rocsparse_complex_numIfEEEvii21rocsparse_index_base_PKT2_PKiS9_iiiiS4_PS5_PiSB_ii
		.amdhsa_group_segment_fixed_size 0
		.amdhsa_private_segment_fixed_size 0
		.amdhsa_kernarg_size 96
		.amdhsa_user_sgpr_count 6
		.amdhsa_user_sgpr_private_segment_buffer 1
		.amdhsa_user_sgpr_dispatch_ptr 0
		.amdhsa_user_sgpr_queue_ptr 0
		.amdhsa_user_sgpr_kernarg_segment_ptr 1
		.amdhsa_user_sgpr_dispatch_id 0
		.amdhsa_user_sgpr_flat_scratch_init 0
		.amdhsa_user_sgpr_private_segment_size 0
		.amdhsa_uses_dynamic_stack 0
		.amdhsa_system_sgpr_private_segment_wavefront_offset 0
		.amdhsa_system_sgpr_workgroup_id_x 1
		.amdhsa_system_sgpr_workgroup_id_y 0
		.amdhsa_system_sgpr_workgroup_id_z 0
		.amdhsa_system_sgpr_workgroup_info 0
		.amdhsa_system_vgpr_workitem_id 0
		.amdhsa_next_free_vgpr 21
		.amdhsa_next_free_sgpr 44
		.amdhsa_reserve_vcc 1
		.amdhsa_reserve_flat_scratch 0
		.amdhsa_float_round_mode_32 0
		.amdhsa_float_round_mode_16_64 0
		.amdhsa_float_denorm_mode_32 3
		.amdhsa_float_denorm_mode_16_64 3
		.amdhsa_dx10_clamp 1
		.amdhsa_ieee_mode 1
		.amdhsa_fp16_overflow 0
		.amdhsa_exception_fp_ieee_invalid_op 0
		.amdhsa_exception_fp_denorm_src 0
		.amdhsa_exception_fp_ieee_div_zero 0
		.amdhsa_exception_fp_ieee_overflow 0
		.amdhsa_exception_fp_ieee_underflow 0
		.amdhsa_exception_fp_ieee_inexact 0
		.amdhsa_exception_int_div_zero 0
	.end_amdhsa_kernel
	.section	.text._ZN9rocsparseL23gebsr2gebsr_fast_kernelIL20rocsparse_direction_0ELi32ELi32E21rocsparse_complex_numIfEEEvii21rocsparse_index_base_PKT2_PKiS9_iiiiS4_PS5_PiSB_ii,"axG",@progbits,_ZN9rocsparseL23gebsr2gebsr_fast_kernelIL20rocsparse_direction_0ELi32ELi32E21rocsparse_complex_numIfEEEvii21rocsparse_index_base_PKT2_PKiS9_iiiiS4_PS5_PiSB_ii,comdat
.Lfunc_end32:
	.size	_ZN9rocsparseL23gebsr2gebsr_fast_kernelIL20rocsparse_direction_0ELi32ELi32E21rocsparse_complex_numIfEEEvii21rocsparse_index_base_PKT2_PKiS9_iiiiS4_PS5_PiSB_ii, .Lfunc_end32-_ZN9rocsparseL23gebsr2gebsr_fast_kernelIL20rocsparse_direction_0ELi32ELi32E21rocsparse_complex_numIfEEEvii21rocsparse_index_base_PKT2_PKiS9_iiiiS4_PS5_PiSB_ii
                                        ; -- End function
	.set _ZN9rocsparseL23gebsr2gebsr_fast_kernelIL20rocsparse_direction_0ELi32ELi32E21rocsparse_complex_numIfEEEvii21rocsparse_index_base_PKT2_PKiS9_iiiiS4_PS5_PiSB_ii.num_vgpr, 21
	.set _ZN9rocsparseL23gebsr2gebsr_fast_kernelIL20rocsparse_direction_0ELi32ELi32E21rocsparse_complex_numIfEEEvii21rocsparse_index_base_PKT2_PKiS9_iiiiS4_PS5_PiSB_ii.num_agpr, 0
	.set _ZN9rocsparseL23gebsr2gebsr_fast_kernelIL20rocsparse_direction_0ELi32ELi32E21rocsparse_complex_numIfEEEvii21rocsparse_index_base_PKT2_PKiS9_iiiiS4_PS5_PiSB_ii.numbered_sgpr, 44
	.set _ZN9rocsparseL23gebsr2gebsr_fast_kernelIL20rocsparse_direction_0ELi32ELi32E21rocsparse_complex_numIfEEEvii21rocsparse_index_base_PKT2_PKiS9_iiiiS4_PS5_PiSB_ii.num_named_barrier, 0
	.set _ZN9rocsparseL23gebsr2gebsr_fast_kernelIL20rocsparse_direction_0ELi32ELi32E21rocsparse_complex_numIfEEEvii21rocsparse_index_base_PKT2_PKiS9_iiiiS4_PS5_PiSB_ii.private_seg_size, 0
	.set _ZN9rocsparseL23gebsr2gebsr_fast_kernelIL20rocsparse_direction_0ELi32ELi32E21rocsparse_complex_numIfEEEvii21rocsparse_index_base_PKT2_PKiS9_iiiiS4_PS5_PiSB_ii.uses_vcc, 1
	.set _ZN9rocsparseL23gebsr2gebsr_fast_kernelIL20rocsparse_direction_0ELi32ELi32E21rocsparse_complex_numIfEEEvii21rocsparse_index_base_PKT2_PKiS9_iiiiS4_PS5_PiSB_ii.uses_flat_scratch, 0
	.set _ZN9rocsparseL23gebsr2gebsr_fast_kernelIL20rocsparse_direction_0ELi32ELi32E21rocsparse_complex_numIfEEEvii21rocsparse_index_base_PKT2_PKiS9_iiiiS4_PS5_PiSB_ii.has_dyn_sized_stack, 0
	.set _ZN9rocsparseL23gebsr2gebsr_fast_kernelIL20rocsparse_direction_0ELi32ELi32E21rocsparse_complex_numIfEEEvii21rocsparse_index_base_PKT2_PKiS9_iiiiS4_PS5_PiSB_ii.has_recursion, 0
	.set _ZN9rocsparseL23gebsr2gebsr_fast_kernelIL20rocsparse_direction_0ELi32ELi32E21rocsparse_complex_numIfEEEvii21rocsparse_index_base_PKT2_PKiS9_iiiiS4_PS5_PiSB_ii.has_indirect_call, 0
	.section	.AMDGPU.csdata,"",@progbits
; Kernel info:
; codeLenInByte = 1504
; TotalNumSgprs: 48
; NumVgprs: 21
; ScratchSize: 0
; MemoryBound: 0
; FloatMode: 240
; IeeeMode: 1
; LDSByteSize: 0 bytes/workgroup (compile time only)
; SGPRBlocks: 5
; VGPRBlocks: 5
; NumSGPRsForWavesPerEU: 48
; NumVGPRsForWavesPerEU: 21
; Occupancy: 10
; WaveLimiterHint : 0
; COMPUTE_PGM_RSRC2:SCRATCH_EN: 0
; COMPUTE_PGM_RSRC2:USER_SGPR: 6
; COMPUTE_PGM_RSRC2:TRAP_HANDLER: 0
; COMPUTE_PGM_RSRC2:TGID_X_EN: 1
; COMPUTE_PGM_RSRC2:TGID_Y_EN: 0
; COMPUTE_PGM_RSRC2:TGID_Z_EN: 0
; COMPUTE_PGM_RSRC2:TIDIG_COMP_CNT: 0
	.section	.text._ZN9rocsparseL23gebsr2gebsr_fast_kernelIL20rocsparse_direction_1ELi16ELi2E21rocsparse_complex_numIfEEEvii21rocsparse_index_base_PKT2_PKiS9_iiiiS4_PS5_PiSB_ii,"axG",@progbits,_ZN9rocsparseL23gebsr2gebsr_fast_kernelIL20rocsparse_direction_1ELi16ELi2E21rocsparse_complex_numIfEEEvii21rocsparse_index_base_PKT2_PKiS9_iiiiS4_PS5_PiSB_ii,comdat
	.globl	_ZN9rocsparseL23gebsr2gebsr_fast_kernelIL20rocsparse_direction_1ELi16ELi2E21rocsparse_complex_numIfEEEvii21rocsparse_index_base_PKT2_PKiS9_iiiiS4_PS5_PiSB_ii ; -- Begin function _ZN9rocsparseL23gebsr2gebsr_fast_kernelIL20rocsparse_direction_1ELi16ELi2E21rocsparse_complex_numIfEEEvii21rocsparse_index_base_PKT2_PKiS9_iiiiS4_PS5_PiSB_ii
	.p2align	8
	.type	_ZN9rocsparseL23gebsr2gebsr_fast_kernelIL20rocsparse_direction_1ELi16ELi2E21rocsparse_complex_numIfEEEvii21rocsparse_index_base_PKT2_PKiS9_iiiiS4_PS5_PiSB_ii,@function
_ZN9rocsparseL23gebsr2gebsr_fast_kernelIL20rocsparse_direction_1ELi16ELi2E21rocsparse_complex_numIfEEEvii21rocsparse_index_base_PKT2_PKiS9_iiiiS4_PS5_PiSB_ii: ; @_ZN9rocsparseL23gebsr2gebsr_fast_kernelIL20rocsparse_direction_1ELi16ELi2E21rocsparse_complex_numIfEEEvii21rocsparse_index_base_PKT2_PKiS9_iiiiS4_PS5_PiSB_ii
; %bb.0:
	s_load_dwordx4 s[8:11], s[4:5], 0x28
	s_load_dword s33, s[4:5], 0x38
	s_load_dwordx2 s[12:13], s[4:5], 0x58
	v_lshrrev_b32_e32 v4, 1, v0
	s_lshl_b32 s2, s6, 3
	s_waitcnt lgkmcnt(0)
	s_abs_i32 s3, s8
	v_cvt_f32_u32_e32 v1, s3
	s_sub_i32 s0, 0, s3
	v_and_b32_e32 v0, 1, v0
	s_load_dword s6, s[4:5], 0x0
	s_load_dword s38, s[4:5], 0x8
	v_rcp_iflag_f32_e32 v1, v1
	v_cmp_gt_i32_e32 vcc, s12, v0
	v_mov_b32_e32 v7, 0
	v_mov_b32_e32 v8, 0
	v_mul_f32_e32 v1, 0x4f7ffffe, v1
	v_cvt_u32_f32_e32 v5, v1
	v_or_b32_e32 v1, s2, v4
	v_mul_lo_u32 v6, s0, v5
	v_mad_u64_u32 v[2:3], s[0:1], v1, s12, v[0:1]
	v_mul_hi_u32 v3, v5, v6
	v_sub_u32_e32 v6, 0, v2
	v_max_i32_e32 v6, v2, v6
	v_xor_b32_e32 v2, s8, v2
	v_add_u32_e32 v3, v5, v3
	v_mul_hi_u32 v3, v6, v3
	v_ashrrev_i32_e32 v5, 31, v2
	v_mul_lo_u32 v9, v3, s3
	v_add_u32_e32 v2, 1, v3
	v_sub_u32_e32 v6, v6, v9
	v_cmp_le_u32_e64 s[0:1], s3, v6
	v_cndmask_b32_e64 v2, v3, v2, s[0:1]
	v_subrev_u32_e32 v3, s3, v6
	v_cndmask_b32_e64 v3, v6, v3, s[0:1]
	v_add_u32_e32 v6, 1, v2
	v_cmp_le_u32_e64 s[0:1], s3, v3
	v_cndmask_b32_e64 v2, v2, v6, s[0:1]
	v_xor_b32_e32 v6, v2, v5
	v_sub_u32_e32 v2, v6, v5
	s_waitcnt lgkmcnt(0)
	v_cmp_gt_i32_e64 s[0:1], s6, v2
	s_and_b64 s[6:7], vcc, s[0:1]
	v_mov_b32_e32 v9, 0
	s_and_saveexec_b64 s[0:1], s[6:7]
	s_cbranch_execnz .LBB33_3
; %bb.1:
	s_or_b64 exec, exec, s[0:1]
	v_cmp_gt_i32_e32 vcc, s10, v1
	s_and_saveexec_b64 s[0:1], vcc
	s_cbranch_execnz .LBB33_4
.LBB33_2:
	s_or_b64 exec, exec, s[0:1]
	s_cmp_lt_i32 s11, 1
	s_cbranch_scc0 .LBB33_5
	s_branch .LBB33_31
.LBB33_3:
	s_load_dwordx2 s[6:7], s[4:5], 0x18
	v_ashrrev_i32_e32 v3, 31, v2
	v_lshlrev_b64 v[2:3], 2, v[2:3]
	s_waitcnt lgkmcnt(0)
	v_mov_b32_e32 v8, s7
	v_add_co_u32_e32 v2, vcc, s6, v2
	v_addc_co_u32_e32 v3, vcc, v8, v3, vcc
	global_load_dwordx2 v[2:3], v[2:3], off
	s_waitcnt vmcnt(0)
	v_subrev_u32_e32 v9, s38, v2
	v_subrev_u32_e32 v8, s38, v3
	s_or_b64 exec, exec, s[0:1]
	v_cmp_gt_i32_e32 vcc, s10, v1
	s_and_saveexec_b64 s[0:1], vcc
	s_cbranch_execz .LBB33_2
.LBB33_4:
	s_load_dwordx2 s[6:7], s[4:5], 0x48
	v_ashrrev_i32_e32 v2, 31, v1
	v_lshlrev_b64 v[1:2], 2, v[1:2]
	s_waitcnt lgkmcnt(0)
	v_mov_b32_e32 v3, s7
	v_add_co_u32_e32 v1, vcc, s6, v1
	v_addc_co_u32_e32 v2, vcc, v3, v2, vcc
	global_load_dword v1, v[1:2], off
	s_waitcnt vmcnt(0)
	v_subrev_u32_e32 v7, s33, v1
	s_or_b64 exec, exec, s[0:1]
	s_cmp_lt_i32 s11, 1
	s_cbranch_scc1 .LBB33_31
.LBB33_5:
	s_cmp_gt_i32 s9, 0
	s_cselect_b64 s[20:21], -1, 0
	s_abs_i32 s10, s13
	v_cvt_f32_u32_e32 v1, s10
	s_sub_i32 s3, 0, s10
	s_load_dwordx2 s[6:7], s[4:5], 0x50
	s_load_dwordx2 s[14:15], s[4:5], 0x40
	;; [unrolled: 1-line block ×4, first 2 shown]
	v_add_u32_e32 v4, s2, v4
	v_rcp_iflag_f32_e32 v1, v1
	v_cmp_ne_u32_e64 s[0:1], 0, v0
	v_add_u32_e32 v10, -1, v7
	s_ashr_i32 s39, s13, 31
	v_mul_f32_e32 v1, 0x4f7ffffe, v1
	v_cvt_u32_f32_e32 v3, v1
	v_mbcnt_lo_u32_b32 v1, -1, 0
	v_mbcnt_hi_u32_b32 v11, -1, v1
	v_lshl_or_b32 v11, v11, 2, 4
	v_mul_lo_u32 v2, s3, v3
	s_mul_i32 s40, s9, s8
	s_mov_b64 s[4:5], 0
	v_mov_b32_e32 v13, 0
	v_mul_hi_u32 v12, v3, v2
	v_mad_u64_u32 v[1:2], s[2:3], s12, v4, v[0:1]
	v_sub_u32_e32 v2, v5, v6
	v_add_u32_e32 v12, v3, v12
	v_cndmask_b32_e64 v3, 0, 1, s[20:21]
	v_mov_b32_e32 v5, 0
	v_cmp_ne_u32_e64 s[2:3], 1, v3
	s_branch .LBB33_7
.LBB33_6:                               ;   in Loop: Header=BB33_7 Depth=1
	s_or_b64 exec, exec, s[20:21]
	s_waitcnt lgkmcnt(0)
	v_add_u32_e32 v5, 1, v14
	v_cmp_le_i32_e32 vcc, s11, v5
	s_or_b64 s[4:5], vcc, s[4:5]
	s_andn2_b64 exec, exec, s[4:5]
	s_cbranch_execz .LBB33_31
.LBB33_7:                               ; =>This Loop Header: Depth=1
                                        ;     Child Loop BB33_11 Depth 2
                                        ;       Child Loop BB33_13 Depth 3
                                        ;     Child Loop BB33_21 Depth 2
                                        ;       Child Loop BB33_24 Depth 3
	v_cmp_lt_i32_e32 vcc, v9, v8
	v_mov_b32_e32 v6, s11
	s_and_saveexec_b64 s[20:21], vcc
	s_cbranch_execz .LBB33_16
; %bb.8:                                ;   in Loop: Header=BB33_7 Depth=1
	s_mov_b64 s[22:23], 0
	v_mov_b32_e32 v6, s11
	v_mov_b32_e32 v3, v9
	s_branch .LBB33_11
.LBB33_9:                               ;   in Loop: Header=BB33_11 Depth=2
	s_mov_b64 s[24:25], 0
.LBB33_10:                              ;   in Loop: Header=BB33_11 Depth=2
	v_add_u32_e32 v3, 1, v3
	v_cmp_ge_i32_e32 vcc, v3, v8
	s_or_b64 s[24:25], s[24:25], vcc
	s_and_b64 s[24:25], exec, s[24:25]
	s_or_b64 s[22:23], s[24:25], s[22:23]
	s_andn2_b64 exec, exec, s[22:23]
	s_cbranch_execz .LBB33_15
.LBB33_11:                              ;   Parent Loop BB33_7 Depth=1
                                        ; =>  This Loop Header: Depth=2
                                        ;       Child Loop BB33_13 Depth 3
	s_and_b64 vcc, exec, s[2:3]
	s_cbranch_vccnz .LBB33_9
; %bb.12:                               ;   in Loop: Header=BB33_11 Depth=2
	v_ashrrev_i32_e32 v4, 31, v3
	v_lshlrev_b64 v[14:15], 2, v[3:4]
	s_waitcnt lgkmcnt(0)
	v_mov_b32_e32 v4, s19
	v_add_co_u32_e32 v14, vcc, s18, v14
	v_addc_co_u32_e32 v15, vcc, v4, v15, vcc
	global_load_dword v4, v[14:15], off
	s_mov_b32 s30, 0
	s_mov_b64 s[28:29], 0
	s_mov_b64 s[26:27], 0
                                        ; implicit-def: $sgpr24_sgpr25
	s_waitcnt vmcnt(0)
	v_subrev_u32_e32 v4, s38, v4
	v_mul_lo_u32 v4, v4, s9
.LBB33_13:                              ;   Parent Loop BB33_7 Depth=1
                                        ;     Parent Loop BB33_11 Depth=2
                                        ; =>    This Inner Loop Header: Depth=3
	v_add_u32_e32 v14, s30, v4
	v_sub_u32_e32 v16, 0, v14
	v_ashrrev_i32_e32 v15, 31, v14
	v_max_i32_e32 v14, v14, v16
	v_mul_hi_u32 v16, v14, v12
	v_xor_b32_e32 v15, s39, v15
	s_add_i32 s30, s30, 1
	v_mul_lo_u32 v17, v16, s10
	v_add_u32_e32 v18, 1, v16
	v_sub_u32_e32 v14, v14, v17
	v_cmp_le_u32_e32 vcc, s10, v14
	v_subrev_u32_e32 v17, s10, v14
	v_cndmask_b32_e32 v16, v16, v18, vcc
	v_cndmask_b32_e32 v14, v14, v17, vcc
	v_add_u32_e32 v17, 1, v16
	v_cmp_le_u32_e32 vcc, s10, v14
	v_cndmask_b32_e32 v14, v16, v17, vcc
	v_xor_b32_e32 v14, v14, v15
	v_sub_u32_e32 v14, v14, v15
	v_cmp_ge_i32_e32 vcc, v14, v5
	s_or_b64 s[28:29], vcc, s[28:29]
	s_cmp_ge_i32 s30, s9
	s_cselect_b64 s[34:35], -1, 0
	s_or_b64 s[34:35], vcc, s[34:35]
	s_and_b64 s[34:35], exec, s[34:35]
	s_or_b64 s[26:27], s[34:35], s[26:27]
	s_andn2_b64 s[24:25], s[24:25], exec
	s_and_b64 s[34:35], s[28:29], exec
	v_cndmask_b32_e32 v6, v6, v14, vcc
	v_cndmask_b32_e32 v9, v9, v3, vcc
	s_or_b64 s[24:25], s[24:25], s[34:35]
	s_andn2_b64 exec, exec, s[26:27]
	s_cbranch_execnz .LBB33_13
; %bb.14:                               ;   in Loop: Header=BB33_11 Depth=2
	s_or_b64 exec, exec, s[26:27]
	s_branch .LBB33_10
.LBB33_15:                              ;   in Loop: Header=BB33_7 Depth=1
	s_or_b64 exec, exec, s[22:23]
.LBB33_16:                              ;   in Loop: Header=BB33_7 Depth=1
	s_or_b64 exec, exec, s[20:21]
	v_mov_b32_dpp v3, v6 row_shr:1 row_mask:0xf bank_mask:0xf
	v_min_i32_e32 v3, v3, v6
	v_cmp_gt_i32_e32 vcc, s11, v3
	s_and_b64 s[22:23], s[0:1], vcc
	s_and_saveexec_b64 s[20:21], s[22:23]
	s_cbranch_execz .LBB33_18
; %bb.17:                               ;   in Loop: Header=BB33_7 Depth=1
	v_add_u32_e32 v4, v13, v7
	v_ashrrev_i32_e32 v5, 31, v4
	v_lshlrev_b64 v[4:5], 2, v[4:5]
	v_add_u32_e32 v6, 1, v13
	s_waitcnt lgkmcnt(0)
	v_mov_b32_e32 v13, s7
	v_add_co_u32_e32 v4, vcc, s6, v4
	v_addc_co_u32_e32 v5, vcc, v13, v5, vcc
	v_add_u32_e32 v13, s33, v3
	global_store_dword v[4:5], v13, off
	v_mov_b32_e32 v13, v6
.LBB33_18:                              ;   in Loop: Header=BB33_7 Depth=1
	s_or_b64 exec, exec, s[20:21]
	ds_bpermute_b32 v14, v11, v3
	ds_bpermute_b32 v13, v11, v13
	v_cmp_lt_i32_e32 vcc, v9, v8
	s_and_saveexec_b64 s[20:21], vcc
	s_cbranch_execz .LBB33_6
; %bb.19:                               ;   in Loop: Header=BB33_7 Depth=1
	v_mad_u64_u32 v[3:4], s[22:23], s9, v9, v[2:3]
	s_waitcnt lgkmcnt(0)
	v_add_u32_e32 v5, v10, v13
	v_mul_lo_u32 v15, v5, s13
	v_mul_lo_u32 v16, v14, s13
	v_mad_u64_u32 v[3:4], s[22:23], s8, v3, v[1:2]
	s_mov_b64 s[22:23], 0
	v_mov_b32_e32 v4, v9
	s_branch .LBB33_21
.LBB33_20:                              ;   in Loop: Header=BB33_21 Depth=2
	s_or_b64 exec, exec, s[28:29]
	s_and_b64 s[24:25], exec, s[24:25]
	s_or_b64 s[22:23], s[24:25], s[22:23]
	s_andn2_b64 exec, exec, s[22:23]
	s_cbranch_execz .LBB33_6
.LBB33_21:                              ;   Parent Loop BB33_7 Depth=1
                                        ; =>  This Loop Header: Depth=2
                                        ;       Child Loop BB33_24 Depth 3
	s_mov_b64 s[24:25], -1
	s_and_b64 vcc, exec, s[2:3]
	s_mov_b64 s[26:27], -1
	s_cbranch_vccnz .LBB33_29
; %bb.22:                               ;   in Loop: Header=BB33_21 Depth=2
	v_ashrrev_i32_e32 v5, 31, v4
	v_lshlrev_b64 v[5:6], 2, v[4:5]
	v_mov_b32_e32 v17, s19
	v_add_co_u32_e32 v5, vcc, s18, v5
	v_addc_co_u32_e32 v6, vcc, v17, v6, vcc
	global_load_dword v5, v[5:6], off
	s_mov_b64 s[28:29], 0
	s_mov_b32 s41, s9
                                        ; implicit-def: $sgpr26_sgpr27
	s_waitcnt vmcnt(0)
	v_subrev_u32_e32 v5, s38, v5
	v_mul_lo_u32 v17, v5, s9
	v_mov_b32_e32 v5, v3
	s_branch .LBB33_24
.LBB33_23:                              ;   in Loop: Header=BB33_24 Depth=3
	s_or_b64 exec, exec, s[36:37]
	s_xor_b64 s[34:35], s[34:35], -1
	s_and_b64 s[30:31], exec, s[30:31]
	s_or_b64 s[28:29], s[30:31], s[28:29]
	s_andn2_b64 s[26:27], s[26:27], exec
	s_and_b64 s[30:31], s[34:35], exec
	s_or_b64 s[26:27], s[26:27], s[30:31]
	s_andn2_b64 exec, exec, s[28:29]
	s_cbranch_execz .LBB33_28
.LBB33_24:                              ;   Parent Loop BB33_7 Depth=1
                                        ;     Parent Loop BB33_21 Depth=2
                                        ; =>    This Inner Loop Header: Depth=3
	v_sub_u32_e32 v6, 0, v17
	v_max_i32_e32 v6, v17, v6
	v_mul_hi_u32 v18, v6, v12
	v_ashrrev_i32_e32 v20, 31, v17
	v_xor_b32_e32 v20, s39, v20
	v_mul_lo_u32 v19, v18, s10
	v_add_u32_e32 v21, 1, v18
	v_sub_u32_e32 v6, v6, v19
	v_cmp_le_u32_e32 vcc, s10, v6
	v_subrev_u32_e32 v19, s10, v6
	v_cndmask_b32_e32 v18, v18, v21, vcc
	v_cndmask_b32_e32 v6, v6, v19, vcc
	v_add_u32_e32 v19, 1, v18
	v_cmp_le_u32_e32 vcc, s10, v6
	v_cndmask_b32_e32 v6, v18, v19, vcc
	v_xor_b32_e32 v6, v6, v20
	v_sub_u32_e32 v18, v6, v20
	v_cmp_eq_u32_e32 vcc, v18, v14
	s_and_saveexec_b64 s[30:31], vcc
	s_cbranch_execz .LBB33_26
; %bb.25:                               ;   in Loop: Header=BB33_24 Depth=3
	v_ashrrev_i32_e32 v6, 31, v5
	v_lshlrev_b64 v[19:20], 3, v[5:6]
	v_mov_b32_e32 v6, s17
	v_add_co_u32_e32 v19, vcc, s16, v19
	v_addc_co_u32_e32 v20, vcc, v6, v20, vcc
	global_load_dwordx2 v[19:20], v[19:20], off
	v_sub_u32_e32 v6, v17, v16
	v_add_u32_e32 v6, v6, v15
	v_mad_u64_u32 v[21:22], s[34:35], v6, s12, v[0:1]
	v_mov_b32_e32 v6, s15
	v_ashrrev_i32_e32 v22, 31, v21
	v_lshlrev_b64 v[21:22], 3, v[21:22]
	v_add_co_u32_e32 v21, vcc, s14, v21
	v_addc_co_u32_e32 v22, vcc, v6, v22, vcc
	s_waitcnt vmcnt(0)
	global_store_dwordx2 v[21:22], v[19:20], off
.LBB33_26:                              ;   in Loop: Header=BB33_24 Depth=3
	s_or_b64 exec, exec, s[30:31]
	v_cmp_le_i32_e32 vcc, v18, v14
	s_mov_b64 s[30:31], -1
	s_mov_b64 s[34:35], -1
	s_and_saveexec_b64 s[36:37], vcc
	s_cbranch_execz .LBB33_23
; %bb.27:                               ;   in Loop: Header=BB33_24 Depth=3
	s_add_i32 s41, s41, -1
	s_cmp_eq_u32 s41, 0
	s_cselect_b64 s[30:31], -1, 0
	v_add_u32_e32 v17, 1, v17
	v_add_u32_e32 v5, s8, v5
	s_xor_b64 s[34:35], exec, -1
	s_orn2_b64 s[30:31], s[30:31], exec
	s_branch .LBB33_23
.LBB33_28:                              ;   in Loop: Header=BB33_21 Depth=2
	s_or_b64 exec, exec, s[28:29]
.LBB33_29:                              ;   in Loop: Header=BB33_21 Depth=2
	s_and_saveexec_b64 s[28:29], s[26:27]
	s_cbranch_execz .LBB33_20
; %bb.30:                               ;   in Loop: Header=BB33_21 Depth=2
	v_add_u32_e32 v4, 1, v4
	v_cmp_ge_i32_e32 vcc, v4, v8
	v_add_u32_e32 v3, s40, v3
	s_orn2_b64 s[24:25], vcc, exec
	s_branch .LBB33_20
.LBB33_31:
	s_endpgm
	.section	.rodata,"a",@progbits
	.p2align	6, 0x0
	.amdhsa_kernel _ZN9rocsparseL23gebsr2gebsr_fast_kernelIL20rocsparse_direction_1ELi16ELi2E21rocsparse_complex_numIfEEEvii21rocsparse_index_base_PKT2_PKiS9_iiiiS4_PS5_PiSB_ii
		.amdhsa_group_segment_fixed_size 0
		.amdhsa_private_segment_fixed_size 0
		.amdhsa_kernarg_size 96
		.amdhsa_user_sgpr_count 6
		.amdhsa_user_sgpr_private_segment_buffer 1
		.amdhsa_user_sgpr_dispatch_ptr 0
		.amdhsa_user_sgpr_queue_ptr 0
		.amdhsa_user_sgpr_kernarg_segment_ptr 1
		.amdhsa_user_sgpr_dispatch_id 0
		.amdhsa_user_sgpr_flat_scratch_init 0
		.amdhsa_user_sgpr_private_segment_size 0
		.amdhsa_uses_dynamic_stack 0
		.amdhsa_system_sgpr_private_segment_wavefront_offset 0
		.amdhsa_system_sgpr_workgroup_id_x 1
		.amdhsa_system_sgpr_workgroup_id_y 0
		.amdhsa_system_sgpr_workgroup_id_z 0
		.amdhsa_system_sgpr_workgroup_info 0
		.amdhsa_system_vgpr_workitem_id 0
		.amdhsa_next_free_vgpr 23
		.amdhsa_next_free_sgpr 42
		.amdhsa_reserve_vcc 1
		.amdhsa_reserve_flat_scratch 0
		.amdhsa_float_round_mode_32 0
		.amdhsa_float_round_mode_16_64 0
		.amdhsa_float_denorm_mode_32 3
		.amdhsa_float_denorm_mode_16_64 3
		.amdhsa_dx10_clamp 1
		.amdhsa_ieee_mode 1
		.amdhsa_fp16_overflow 0
		.amdhsa_exception_fp_ieee_invalid_op 0
		.amdhsa_exception_fp_denorm_src 0
		.amdhsa_exception_fp_ieee_div_zero 0
		.amdhsa_exception_fp_ieee_overflow 0
		.amdhsa_exception_fp_ieee_underflow 0
		.amdhsa_exception_fp_ieee_inexact 0
		.amdhsa_exception_int_div_zero 0
	.end_amdhsa_kernel
	.section	.text._ZN9rocsparseL23gebsr2gebsr_fast_kernelIL20rocsparse_direction_1ELi16ELi2E21rocsparse_complex_numIfEEEvii21rocsparse_index_base_PKT2_PKiS9_iiiiS4_PS5_PiSB_ii,"axG",@progbits,_ZN9rocsparseL23gebsr2gebsr_fast_kernelIL20rocsparse_direction_1ELi16ELi2E21rocsparse_complex_numIfEEEvii21rocsparse_index_base_PKT2_PKiS9_iiiiS4_PS5_PiSB_ii,comdat
.Lfunc_end33:
	.size	_ZN9rocsparseL23gebsr2gebsr_fast_kernelIL20rocsparse_direction_1ELi16ELi2E21rocsparse_complex_numIfEEEvii21rocsparse_index_base_PKT2_PKiS9_iiiiS4_PS5_PiSB_ii, .Lfunc_end33-_ZN9rocsparseL23gebsr2gebsr_fast_kernelIL20rocsparse_direction_1ELi16ELi2E21rocsparse_complex_numIfEEEvii21rocsparse_index_base_PKT2_PKiS9_iiiiS4_PS5_PiSB_ii
                                        ; -- End function
	.set _ZN9rocsparseL23gebsr2gebsr_fast_kernelIL20rocsparse_direction_1ELi16ELi2E21rocsparse_complex_numIfEEEvii21rocsparse_index_base_PKT2_PKiS9_iiiiS4_PS5_PiSB_ii.num_vgpr, 23
	.set _ZN9rocsparseL23gebsr2gebsr_fast_kernelIL20rocsparse_direction_1ELi16ELi2E21rocsparse_complex_numIfEEEvii21rocsparse_index_base_PKT2_PKiS9_iiiiS4_PS5_PiSB_ii.num_agpr, 0
	.set _ZN9rocsparseL23gebsr2gebsr_fast_kernelIL20rocsparse_direction_1ELi16ELi2E21rocsparse_complex_numIfEEEvii21rocsparse_index_base_PKT2_PKiS9_iiiiS4_PS5_PiSB_ii.numbered_sgpr, 42
	.set _ZN9rocsparseL23gebsr2gebsr_fast_kernelIL20rocsparse_direction_1ELi16ELi2E21rocsparse_complex_numIfEEEvii21rocsparse_index_base_PKT2_PKiS9_iiiiS4_PS5_PiSB_ii.num_named_barrier, 0
	.set _ZN9rocsparseL23gebsr2gebsr_fast_kernelIL20rocsparse_direction_1ELi16ELi2E21rocsparse_complex_numIfEEEvii21rocsparse_index_base_PKT2_PKiS9_iiiiS4_PS5_PiSB_ii.private_seg_size, 0
	.set _ZN9rocsparseL23gebsr2gebsr_fast_kernelIL20rocsparse_direction_1ELi16ELi2E21rocsparse_complex_numIfEEEvii21rocsparse_index_base_PKT2_PKiS9_iiiiS4_PS5_PiSB_ii.uses_vcc, 1
	.set _ZN9rocsparseL23gebsr2gebsr_fast_kernelIL20rocsparse_direction_1ELi16ELi2E21rocsparse_complex_numIfEEEvii21rocsparse_index_base_PKT2_PKiS9_iiiiS4_PS5_PiSB_ii.uses_flat_scratch, 0
	.set _ZN9rocsparseL23gebsr2gebsr_fast_kernelIL20rocsparse_direction_1ELi16ELi2E21rocsparse_complex_numIfEEEvii21rocsparse_index_base_PKT2_PKiS9_iiiiS4_PS5_PiSB_ii.has_dyn_sized_stack, 0
	.set _ZN9rocsparseL23gebsr2gebsr_fast_kernelIL20rocsparse_direction_1ELi16ELi2E21rocsparse_complex_numIfEEEvii21rocsparse_index_base_PKT2_PKiS9_iiiiS4_PS5_PiSB_ii.has_recursion, 0
	.set _ZN9rocsparseL23gebsr2gebsr_fast_kernelIL20rocsparse_direction_1ELi16ELi2E21rocsparse_complex_numIfEEEvii21rocsparse_index_base_PKT2_PKiS9_iiiiS4_PS5_PiSB_ii.has_indirect_call, 0
	.section	.AMDGPU.csdata,"",@progbits
; Kernel info:
; codeLenInByte = 1484
; TotalNumSgprs: 46
; NumVgprs: 23
; ScratchSize: 0
; MemoryBound: 0
; FloatMode: 240
; IeeeMode: 1
; LDSByteSize: 0 bytes/workgroup (compile time only)
; SGPRBlocks: 5
; VGPRBlocks: 5
; NumSGPRsForWavesPerEU: 46
; NumVGPRsForWavesPerEU: 23
; Occupancy: 10
; WaveLimiterHint : 0
; COMPUTE_PGM_RSRC2:SCRATCH_EN: 0
; COMPUTE_PGM_RSRC2:USER_SGPR: 6
; COMPUTE_PGM_RSRC2:TRAP_HANDLER: 0
; COMPUTE_PGM_RSRC2:TGID_X_EN: 1
; COMPUTE_PGM_RSRC2:TGID_Y_EN: 0
; COMPUTE_PGM_RSRC2:TGID_Z_EN: 0
; COMPUTE_PGM_RSRC2:TIDIG_COMP_CNT: 0
	.section	.text._ZN9rocsparseL23gebsr2gebsr_fast_kernelIL20rocsparse_direction_1ELi16ELi4E21rocsparse_complex_numIfEEEvii21rocsparse_index_base_PKT2_PKiS9_iiiiS4_PS5_PiSB_ii,"axG",@progbits,_ZN9rocsparseL23gebsr2gebsr_fast_kernelIL20rocsparse_direction_1ELi16ELi4E21rocsparse_complex_numIfEEEvii21rocsparse_index_base_PKT2_PKiS9_iiiiS4_PS5_PiSB_ii,comdat
	.globl	_ZN9rocsparseL23gebsr2gebsr_fast_kernelIL20rocsparse_direction_1ELi16ELi4E21rocsparse_complex_numIfEEEvii21rocsparse_index_base_PKT2_PKiS9_iiiiS4_PS5_PiSB_ii ; -- Begin function _ZN9rocsparseL23gebsr2gebsr_fast_kernelIL20rocsparse_direction_1ELi16ELi4E21rocsparse_complex_numIfEEEvii21rocsparse_index_base_PKT2_PKiS9_iiiiS4_PS5_PiSB_ii
	.p2align	8
	.type	_ZN9rocsparseL23gebsr2gebsr_fast_kernelIL20rocsparse_direction_1ELi16ELi4E21rocsparse_complex_numIfEEEvii21rocsparse_index_base_PKT2_PKiS9_iiiiS4_PS5_PiSB_ii,@function
_ZN9rocsparseL23gebsr2gebsr_fast_kernelIL20rocsparse_direction_1ELi16ELi4E21rocsparse_complex_numIfEEEvii21rocsparse_index_base_PKT2_PKiS9_iiiiS4_PS5_PiSB_ii: ; @_ZN9rocsparseL23gebsr2gebsr_fast_kernelIL20rocsparse_direction_1ELi16ELi4E21rocsparse_complex_numIfEEEvii21rocsparse_index_base_PKT2_PKiS9_iiiiS4_PS5_PiSB_ii
; %bb.0:
	s_load_dwordx4 s[8:11], s[4:5], 0x28
	s_load_dword s33, s[4:5], 0x38
	s_load_dwordx2 s[12:13], s[4:5], 0x58
	v_lshrrev_b32_e32 v4, 2, v0
	s_lshl_b32 s2, s6, 2
	s_waitcnt lgkmcnt(0)
	s_abs_i32 s3, s8
	v_cvt_f32_u32_e32 v1, s3
	s_sub_i32 s0, 0, s3
	v_and_b32_e32 v0, 3, v0
	s_load_dword s6, s[4:5], 0x0
	s_load_dword s38, s[4:5], 0x8
	v_rcp_iflag_f32_e32 v1, v1
	v_cmp_gt_i32_e32 vcc, s12, v0
	v_mov_b32_e32 v7, 0
	v_mov_b32_e32 v8, 0
	v_mul_f32_e32 v1, 0x4f7ffffe, v1
	v_cvt_u32_f32_e32 v5, v1
	v_or_b32_e32 v1, s2, v4
	v_mul_lo_u32 v6, s0, v5
	v_mad_u64_u32 v[2:3], s[0:1], v1, s12, v[0:1]
	v_mul_hi_u32 v3, v5, v6
	v_sub_u32_e32 v6, 0, v2
	v_max_i32_e32 v6, v2, v6
	v_xor_b32_e32 v2, s8, v2
	v_add_u32_e32 v3, v5, v3
	v_mul_hi_u32 v3, v6, v3
	v_ashrrev_i32_e32 v5, 31, v2
	v_mul_lo_u32 v9, v3, s3
	v_add_u32_e32 v2, 1, v3
	v_sub_u32_e32 v6, v6, v9
	v_cmp_le_u32_e64 s[0:1], s3, v6
	v_cndmask_b32_e64 v2, v3, v2, s[0:1]
	v_subrev_u32_e32 v3, s3, v6
	v_cndmask_b32_e64 v3, v6, v3, s[0:1]
	v_add_u32_e32 v6, 1, v2
	v_cmp_le_u32_e64 s[0:1], s3, v3
	v_cndmask_b32_e64 v2, v2, v6, s[0:1]
	v_xor_b32_e32 v6, v2, v5
	v_sub_u32_e32 v2, v6, v5
	s_waitcnt lgkmcnt(0)
	v_cmp_gt_i32_e64 s[0:1], s6, v2
	s_and_b64 s[6:7], vcc, s[0:1]
	v_mov_b32_e32 v9, 0
	s_and_saveexec_b64 s[0:1], s[6:7]
	s_cbranch_execnz .LBB34_3
; %bb.1:
	s_or_b64 exec, exec, s[0:1]
	v_cmp_gt_i32_e32 vcc, s10, v1
	s_and_saveexec_b64 s[0:1], vcc
	s_cbranch_execnz .LBB34_4
.LBB34_2:
	s_or_b64 exec, exec, s[0:1]
	s_cmp_lt_i32 s11, 1
	s_cbranch_scc0 .LBB34_5
	s_branch .LBB34_31
.LBB34_3:
	s_load_dwordx2 s[6:7], s[4:5], 0x18
	v_ashrrev_i32_e32 v3, 31, v2
	v_lshlrev_b64 v[2:3], 2, v[2:3]
	s_waitcnt lgkmcnt(0)
	v_mov_b32_e32 v8, s7
	v_add_co_u32_e32 v2, vcc, s6, v2
	v_addc_co_u32_e32 v3, vcc, v8, v3, vcc
	global_load_dwordx2 v[2:3], v[2:3], off
	s_waitcnt vmcnt(0)
	v_subrev_u32_e32 v9, s38, v2
	v_subrev_u32_e32 v8, s38, v3
	s_or_b64 exec, exec, s[0:1]
	v_cmp_gt_i32_e32 vcc, s10, v1
	s_and_saveexec_b64 s[0:1], vcc
	s_cbranch_execz .LBB34_2
.LBB34_4:
	s_load_dwordx2 s[6:7], s[4:5], 0x48
	v_ashrrev_i32_e32 v2, 31, v1
	v_lshlrev_b64 v[1:2], 2, v[1:2]
	s_waitcnt lgkmcnt(0)
	v_mov_b32_e32 v3, s7
	v_add_co_u32_e32 v1, vcc, s6, v1
	v_addc_co_u32_e32 v2, vcc, v3, v2, vcc
	global_load_dword v1, v[1:2], off
	s_waitcnt vmcnt(0)
	v_subrev_u32_e32 v7, s33, v1
	s_or_b64 exec, exec, s[0:1]
	s_cmp_lt_i32 s11, 1
	s_cbranch_scc1 .LBB34_31
.LBB34_5:
	s_cmp_gt_i32 s9, 0
	s_cselect_b64 s[20:21], -1, 0
	s_abs_i32 s10, s13
	v_cvt_f32_u32_e32 v1, s10
	s_sub_i32 s3, 0, s10
	s_load_dwordx2 s[6:7], s[4:5], 0x50
	s_load_dwordx2 s[14:15], s[4:5], 0x40
	;; [unrolled: 1-line block ×4, first 2 shown]
	v_add_u32_e32 v4, s2, v4
	v_rcp_iflag_f32_e32 v1, v1
	v_cmp_eq_u32_e64 s[0:1], 3, v0
	v_add_u32_e32 v10, -1, v7
	s_ashr_i32 s39, s13, 31
	v_mul_f32_e32 v1, 0x4f7ffffe, v1
	v_cvt_u32_f32_e32 v3, v1
	v_mbcnt_lo_u32_b32 v1, -1, 0
	v_mbcnt_hi_u32_b32 v11, -1, v1
	v_lshl_or_b32 v11, v11, 2, 12
	v_mul_lo_u32 v2, s3, v3
	s_mul_i32 s40, s9, s8
	s_mov_b64 s[4:5], 0
	v_mov_b32_e32 v13, 0
	v_mul_hi_u32 v12, v3, v2
	v_mad_u64_u32 v[1:2], s[2:3], s12, v4, v[0:1]
	v_sub_u32_e32 v2, v5, v6
	v_add_u32_e32 v12, v3, v12
	v_cndmask_b32_e64 v3, 0, 1, s[20:21]
	v_mov_b32_e32 v5, 0
	v_cmp_ne_u32_e64 s[2:3], 1, v3
	s_branch .LBB34_7
.LBB34_6:                               ;   in Loop: Header=BB34_7 Depth=1
	s_or_b64 exec, exec, s[20:21]
	s_waitcnt lgkmcnt(0)
	v_add_u32_e32 v5, 1, v14
	v_cmp_le_i32_e32 vcc, s11, v5
	s_or_b64 s[4:5], vcc, s[4:5]
	s_andn2_b64 exec, exec, s[4:5]
	s_cbranch_execz .LBB34_31
.LBB34_7:                               ; =>This Loop Header: Depth=1
                                        ;     Child Loop BB34_11 Depth 2
                                        ;       Child Loop BB34_13 Depth 3
                                        ;     Child Loop BB34_21 Depth 2
                                        ;       Child Loop BB34_24 Depth 3
	v_cmp_lt_i32_e32 vcc, v9, v8
	v_mov_b32_e32 v6, s11
	s_and_saveexec_b64 s[20:21], vcc
	s_cbranch_execz .LBB34_16
; %bb.8:                                ;   in Loop: Header=BB34_7 Depth=1
	s_mov_b64 s[22:23], 0
	v_mov_b32_e32 v6, s11
	v_mov_b32_e32 v3, v9
	s_branch .LBB34_11
.LBB34_9:                               ;   in Loop: Header=BB34_11 Depth=2
	s_mov_b64 s[24:25], 0
.LBB34_10:                              ;   in Loop: Header=BB34_11 Depth=2
	v_add_u32_e32 v3, 1, v3
	v_cmp_ge_i32_e32 vcc, v3, v8
	s_or_b64 s[24:25], s[24:25], vcc
	s_and_b64 s[24:25], exec, s[24:25]
	s_or_b64 s[22:23], s[24:25], s[22:23]
	s_andn2_b64 exec, exec, s[22:23]
	s_cbranch_execz .LBB34_15
.LBB34_11:                              ;   Parent Loop BB34_7 Depth=1
                                        ; =>  This Loop Header: Depth=2
                                        ;       Child Loop BB34_13 Depth 3
	s_and_b64 vcc, exec, s[2:3]
	s_cbranch_vccnz .LBB34_9
; %bb.12:                               ;   in Loop: Header=BB34_11 Depth=2
	v_ashrrev_i32_e32 v4, 31, v3
	v_lshlrev_b64 v[14:15], 2, v[3:4]
	s_waitcnt lgkmcnt(0)
	v_mov_b32_e32 v4, s19
	v_add_co_u32_e32 v14, vcc, s18, v14
	v_addc_co_u32_e32 v15, vcc, v4, v15, vcc
	global_load_dword v4, v[14:15], off
	s_mov_b32 s30, 0
	s_mov_b64 s[28:29], 0
	s_mov_b64 s[26:27], 0
                                        ; implicit-def: $sgpr24_sgpr25
	s_waitcnt vmcnt(0)
	v_subrev_u32_e32 v4, s38, v4
	v_mul_lo_u32 v4, v4, s9
.LBB34_13:                              ;   Parent Loop BB34_7 Depth=1
                                        ;     Parent Loop BB34_11 Depth=2
                                        ; =>    This Inner Loop Header: Depth=3
	v_add_u32_e32 v14, s30, v4
	v_sub_u32_e32 v16, 0, v14
	v_ashrrev_i32_e32 v15, 31, v14
	v_max_i32_e32 v14, v14, v16
	v_mul_hi_u32 v16, v14, v12
	v_xor_b32_e32 v15, s39, v15
	s_add_i32 s30, s30, 1
	v_mul_lo_u32 v17, v16, s10
	v_add_u32_e32 v18, 1, v16
	v_sub_u32_e32 v14, v14, v17
	v_cmp_le_u32_e32 vcc, s10, v14
	v_subrev_u32_e32 v17, s10, v14
	v_cndmask_b32_e32 v16, v16, v18, vcc
	v_cndmask_b32_e32 v14, v14, v17, vcc
	v_add_u32_e32 v17, 1, v16
	v_cmp_le_u32_e32 vcc, s10, v14
	v_cndmask_b32_e32 v14, v16, v17, vcc
	v_xor_b32_e32 v14, v14, v15
	v_sub_u32_e32 v14, v14, v15
	v_cmp_ge_i32_e32 vcc, v14, v5
	s_or_b64 s[28:29], vcc, s[28:29]
	s_cmp_ge_i32 s30, s9
	s_cselect_b64 s[34:35], -1, 0
	s_or_b64 s[34:35], vcc, s[34:35]
	s_and_b64 s[34:35], exec, s[34:35]
	s_or_b64 s[26:27], s[34:35], s[26:27]
	s_andn2_b64 s[24:25], s[24:25], exec
	s_and_b64 s[34:35], s[28:29], exec
	v_cndmask_b32_e32 v6, v6, v14, vcc
	v_cndmask_b32_e32 v9, v9, v3, vcc
	s_or_b64 s[24:25], s[24:25], s[34:35]
	s_andn2_b64 exec, exec, s[26:27]
	s_cbranch_execnz .LBB34_13
; %bb.14:                               ;   in Loop: Header=BB34_11 Depth=2
	s_or_b64 exec, exec, s[26:27]
	s_branch .LBB34_10
.LBB34_15:                              ;   in Loop: Header=BB34_7 Depth=1
	s_or_b64 exec, exec, s[22:23]
.LBB34_16:                              ;   in Loop: Header=BB34_7 Depth=1
	s_or_b64 exec, exec, s[20:21]
	v_mov_b32_dpp v3, v6 row_shr:1 row_mask:0xf bank_mask:0xf
	v_min_i32_e32 v3, v3, v6
	s_nop 1
	v_mov_b32_dpp v4, v3 row_shr:2 row_mask:0xf bank_mask:0xf
	v_min_i32_e32 v3, v4, v3
	v_cmp_gt_i32_e32 vcc, s11, v3
	s_and_b64 s[22:23], s[0:1], vcc
	s_and_saveexec_b64 s[20:21], s[22:23]
	s_cbranch_execz .LBB34_18
; %bb.17:                               ;   in Loop: Header=BB34_7 Depth=1
	v_add_u32_e32 v4, v13, v7
	v_ashrrev_i32_e32 v5, 31, v4
	v_lshlrev_b64 v[4:5], 2, v[4:5]
	v_add_u32_e32 v6, 1, v13
	s_waitcnt lgkmcnt(0)
	v_mov_b32_e32 v13, s7
	v_add_co_u32_e32 v4, vcc, s6, v4
	v_addc_co_u32_e32 v5, vcc, v13, v5, vcc
	v_add_u32_e32 v13, s33, v3
	global_store_dword v[4:5], v13, off
	v_mov_b32_e32 v13, v6
.LBB34_18:                              ;   in Loop: Header=BB34_7 Depth=1
	s_or_b64 exec, exec, s[20:21]
	ds_bpermute_b32 v14, v11, v3
	ds_bpermute_b32 v13, v11, v13
	v_cmp_lt_i32_e32 vcc, v9, v8
	s_and_saveexec_b64 s[20:21], vcc
	s_cbranch_execz .LBB34_6
; %bb.19:                               ;   in Loop: Header=BB34_7 Depth=1
	v_mad_u64_u32 v[3:4], s[22:23], s9, v9, v[2:3]
	s_waitcnt lgkmcnt(0)
	v_add_u32_e32 v5, v10, v13
	v_mul_lo_u32 v15, v5, s13
	v_mul_lo_u32 v16, v14, s13
	v_mad_u64_u32 v[3:4], s[22:23], s8, v3, v[1:2]
	s_mov_b64 s[22:23], 0
	v_mov_b32_e32 v4, v9
	s_branch .LBB34_21
.LBB34_20:                              ;   in Loop: Header=BB34_21 Depth=2
	s_or_b64 exec, exec, s[28:29]
	s_and_b64 s[24:25], exec, s[24:25]
	s_or_b64 s[22:23], s[24:25], s[22:23]
	s_andn2_b64 exec, exec, s[22:23]
	s_cbranch_execz .LBB34_6
.LBB34_21:                              ;   Parent Loop BB34_7 Depth=1
                                        ; =>  This Loop Header: Depth=2
                                        ;       Child Loop BB34_24 Depth 3
	s_mov_b64 s[24:25], -1
	s_and_b64 vcc, exec, s[2:3]
	s_mov_b64 s[26:27], -1
	s_cbranch_vccnz .LBB34_29
; %bb.22:                               ;   in Loop: Header=BB34_21 Depth=2
	v_ashrrev_i32_e32 v5, 31, v4
	v_lshlrev_b64 v[5:6], 2, v[4:5]
	v_mov_b32_e32 v17, s19
	v_add_co_u32_e32 v5, vcc, s18, v5
	v_addc_co_u32_e32 v6, vcc, v17, v6, vcc
	global_load_dword v5, v[5:6], off
	s_mov_b64 s[28:29], 0
	s_mov_b32 s41, s9
                                        ; implicit-def: $sgpr26_sgpr27
	s_waitcnt vmcnt(0)
	v_subrev_u32_e32 v5, s38, v5
	v_mul_lo_u32 v17, v5, s9
	v_mov_b32_e32 v5, v3
	s_branch .LBB34_24
.LBB34_23:                              ;   in Loop: Header=BB34_24 Depth=3
	s_or_b64 exec, exec, s[36:37]
	s_xor_b64 s[34:35], s[34:35], -1
	s_and_b64 s[30:31], exec, s[30:31]
	s_or_b64 s[28:29], s[30:31], s[28:29]
	s_andn2_b64 s[26:27], s[26:27], exec
	s_and_b64 s[30:31], s[34:35], exec
	s_or_b64 s[26:27], s[26:27], s[30:31]
	s_andn2_b64 exec, exec, s[28:29]
	s_cbranch_execz .LBB34_28
.LBB34_24:                              ;   Parent Loop BB34_7 Depth=1
                                        ;     Parent Loop BB34_21 Depth=2
                                        ; =>    This Inner Loop Header: Depth=3
	v_sub_u32_e32 v6, 0, v17
	v_max_i32_e32 v6, v17, v6
	v_mul_hi_u32 v18, v6, v12
	v_ashrrev_i32_e32 v20, 31, v17
	v_xor_b32_e32 v20, s39, v20
	v_mul_lo_u32 v19, v18, s10
	v_add_u32_e32 v21, 1, v18
	v_sub_u32_e32 v6, v6, v19
	v_cmp_le_u32_e32 vcc, s10, v6
	v_subrev_u32_e32 v19, s10, v6
	v_cndmask_b32_e32 v18, v18, v21, vcc
	v_cndmask_b32_e32 v6, v6, v19, vcc
	v_add_u32_e32 v19, 1, v18
	v_cmp_le_u32_e32 vcc, s10, v6
	v_cndmask_b32_e32 v6, v18, v19, vcc
	v_xor_b32_e32 v6, v6, v20
	v_sub_u32_e32 v18, v6, v20
	v_cmp_eq_u32_e32 vcc, v18, v14
	s_and_saveexec_b64 s[30:31], vcc
	s_cbranch_execz .LBB34_26
; %bb.25:                               ;   in Loop: Header=BB34_24 Depth=3
	v_ashrrev_i32_e32 v6, 31, v5
	v_lshlrev_b64 v[19:20], 3, v[5:6]
	v_mov_b32_e32 v6, s17
	v_add_co_u32_e32 v19, vcc, s16, v19
	v_addc_co_u32_e32 v20, vcc, v6, v20, vcc
	global_load_dwordx2 v[19:20], v[19:20], off
	v_sub_u32_e32 v6, v17, v16
	v_add_u32_e32 v6, v6, v15
	v_mad_u64_u32 v[21:22], s[34:35], v6, s12, v[0:1]
	v_mov_b32_e32 v6, s15
	v_ashrrev_i32_e32 v22, 31, v21
	v_lshlrev_b64 v[21:22], 3, v[21:22]
	v_add_co_u32_e32 v21, vcc, s14, v21
	v_addc_co_u32_e32 v22, vcc, v6, v22, vcc
	s_waitcnt vmcnt(0)
	global_store_dwordx2 v[21:22], v[19:20], off
.LBB34_26:                              ;   in Loop: Header=BB34_24 Depth=3
	s_or_b64 exec, exec, s[30:31]
	v_cmp_le_i32_e32 vcc, v18, v14
	s_mov_b64 s[30:31], -1
	s_mov_b64 s[34:35], -1
	s_and_saveexec_b64 s[36:37], vcc
	s_cbranch_execz .LBB34_23
; %bb.27:                               ;   in Loop: Header=BB34_24 Depth=3
	s_add_i32 s41, s41, -1
	s_cmp_eq_u32 s41, 0
	s_cselect_b64 s[30:31], -1, 0
	v_add_u32_e32 v17, 1, v17
	v_add_u32_e32 v5, s8, v5
	s_xor_b64 s[34:35], exec, -1
	s_orn2_b64 s[30:31], s[30:31], exec
	s_branch .LBB34_23
.LBB34_28:                              ;   in Loop: Header=BB34_21 Depth=2
	s_or_b64 exec, exec, s[28:29]
.LBB34_29:                              ;   in Loop: Header=BB34_21 Depth=2
	s_and_saveexec_b64 s[28:29], s[26:27]
	s_cbranch_execz .LBB34_20
; %bb.30:                               ;   in Loop: Header=BB34_21 Depth=2
	v_add_u32_e32 v4, 1, v4
	v_cmp_ge_i32_e32 vcc, v4, v8
	v_add_u32_e32 v3, s40, v3
	s_orn2_b64 s[24:25], vcc, exec
	s_branch .LBB34_20
.LBB34_31:
	s_endpgm
	.section	.rodata,"a",@progbits
	.p2align	6, 0x0
	.amdhsa_kernel _ZN9rocsparseL23gebsr2gebsr_fast_kernelIL20rocsparse_direction_1ELi16ELi4E21rocsparse_complex_numIfEEEvii21rocsparse_index_base_PKT2_PKiS9_iiiiS4_PS5_PiSB_ii
		.amdhsa_group_segment_fixed_size 0
		.amdhsa_private_segment_fixed_size 0
		.amdhsa_kernarg_size 96
		.amdhsa_user_sgpr_count 6
		.amdhsa_user_sgpr_private_segment_buffer 1
		.amdhsa_user_sgpr_dispatch_ptr 0
		.amdhsa_user_sgpr_queue_ptr 0
		.amdhsa_user_sgpr_kernarg_segment_ptr 1
		.amdhsa_user_sgpr_dispatch_id 0
		.amdhsa_user_sgpr_flat_scratch_init 0
		.amdhsa_user_sgpr_private_segment_size 0
		.amdhsa_uses_dynamic_stack 0
		.amdhsa_system_sgpr_private_segment_wavefront_offset 0
		.amdhsa_system_sgpr_workgroup_id_x 1
		.amdhsa_system_sgpr_workgroup_id_y 0
		.amdhsa_system_sgpr_workgroup_id_z 0
		.amdhsa_system_sgpr_workgroup_info 0
		.amdhsa_system_vgpr_workitem_id 0
		.amdhsa_next_free_vgpr 23
		.amdhsa_next_free_sgpr 42
		.amdhsa_reserve_vcc 1
		.amdhsa_reserve_flat_scratch 0
		.amdhsa_float_round_mode_32 0
		.amdhsa_float_round_mode_16_64 0
		.amdhsa_float_denorm_mode_32 3
		.amdhsa_float_denorm_mode_16_64 3
		.amdhsa_dx10_clamp 1
		.amdhsa_ieee_mode 1
		.amdhsa_fp16_overflow 0
		.amdhsa_exception_fp_ieee_invalid_op 0
		.amdhsa_exception_fp_denorm_src 0
		.amdhsa_exception_fp_ieee_div_zero 0
		.amdhsa_exception_fp_ieee_overflow 0
		.amdhsa_exception_fp_ieee_underflow 0
		.amdhsa_exception_fp_ieee_inexact 0
		.amdhsa_exception_int_div_zero 0
	.end_amdhsa_kernel
	.section	.text._ZN9rocsparseL23gebsr2gebsr_fast_kernelIL20rocsparse_direction_1ELi16ELi4E21rocsparse_complex_numIfEEEvii21rocsparse_index_base_PKT2_PKiS9_iiiiS4_PS5_PiSB_ii,"axG",@progbits,_ZN9rocsparseL23gebsr2gebsr_fast_kernelIL20rocsparse_direction_1ELi16ELi4E21rocsparse_complex_numIfEEEvii21rocsparse_index_base_PKT2_PKiS9_iiiiS4_PS5_PiSB_ii,comdat
.Lfunc_end34:
	.size	_ZN9rocsparseL23gebsr2gebsr_fast_kernelIL20rocsparse_direction_1ELi16ELi4E21rocsparse_complex_numIfEEEvii21rocsparse_index_base_PKT2_PKiS9_iiiiS4_PS5_PiSB_ii, .Lfunc_end34-_ZN9rocsparseL23gebsr2gebsr_fast_kernelIL20rocsparse_direction_1ELi16ELi4E21rocsparse_complex_numIfEEEvii21rocsparse_index_base_PKT2_PKiS9_iiiiS4_PS5_PiSB_ii
                                        ; -- End function
	.set _ZN9rocsparseL23gebsr2gebsr_fast_kernelIL20rocsparse_direction_1ELi16ELi4E21rocsparse_complex_numIfEEEvii21rocsparse_index_base_PKT2_PKiS9_iiiiS4_PS5_PiSB_ii.num_vgpr, 23
	.set _ZN9rocsparseL23gebsr2gebsr_fast_kernelIL20rocsparse_direction_1ELi16ELi4E21rocsparse_complex_numIfEEEvii21rocsparse_index_base_PKT2_PKiS9_iiiiS4_PS5_PiSB_ii.num_agpr, 0
	.set _ZN9rocsparseL23gebsr2gebsr_fast_kernelIL20rocsparse_direction_1ELi16ELi4E21rocsparse_complex_numIfEEEvii21rocsparse_index_base_PKT2_PKiS9_iiiiS4_PS5_PiSB_ii.numbered_sgpr, 42
	.set _ZN9rocsparseL23gebsr2gebsr_fast_kernelIL20rocsparse_direction_1ELi16ELi4E21rocsparse_complex_numIfEEEvii21rocsparse_index_base_PKT2_PKiS9_iiiiS4_PS5_PiSB_ii.num_named_barrier, 0
	.set _ZN9rocsparseL23gebsr2gebsr_fast_kernelIL20rocsparse_direction_1ELi16ELi4E21rocsparse_complex_numIfEEEvii21rocsparse_index_base_PKT2_PKiS9_iiiiS4_PS5_PiSB_ii.private_seg_size, 0
	.set _ZN9rocsparseL23gebsr2gebsr_fast_kernelIL20rocsparse_direction_1ELi16ELi4E21rocsparse_complex_numIfEEEvii21rocsparse_index_base_PKT2_PKiS9_iiiiS4_PS5_PiSB_ii.uses_vcc, 1
	.set _ZN9rocsparseL23gebsr2gebsr_fast_kernelIL20rocsparse_direction_1ELi16ELi4E21rocsparse_complex_numIfEEEvii21rocsparse_index_base_PKT2_PKiS9_iiiiS4_PS5_PiSB_ii.uses_flat_scratch, 0
	.set _ZN9rocsparseL23gebsr2gebsr_fast_kernelIL20rocsparse_direction_1ELi16ELi4E21rocsparse_complex_numIfEEEvii21rocsparse_index_base_PKT2_PKiS9_iiiiS4_PS5_PiSB_ii.has_dyn_sized_stack, 0
	.set _ZN9rocsparseL23gebsr2gebsr_fast_kernelIL20rocsparse_direction_1ELi16ELi4E21rocsparse_complex_numIfEEEvii21rocsparse_index_base_PKT2_PKiS9_iiiiS4_PS5_PiSB_ii.has_recursion, 0
	.set _ZN9rocsparseL23gebsr2gebsr_fast_kernelIL20rocsparse_direction_1ELi16ELi4E21rocsparse_complex_numIfEEEvii21rocsparse_index_base_PKT2_PKiS9_iiiiS4_PS5_PiSB_ii.has_indirect_call, 0
	.section	.AMDGPU.csdata,"",@progbits
; Kernel info:
; codeLenInByte = 1500
; TotalNumSgprs: 46
; NumVgprs: 23
; ScratchSize: 0
; MemoryBound: 0
; FloatMode: 240
; IeeeMode: 1
; LDSByteSize: 0 bytes/workgroup (compile time only)
; SGPRBlocks: 5
; VGPRBlocks: 5
; NumSGPRsForWavesPerEU: 46
; NumVGPRsForWavesPerEU: 23
; Occupancy: 10
; WaveLimiterHint : 0
; COMPUTE_PGM_RSRC2:SCRATCH_EN: 0
; COMPUTE_PGM_RSRC2:USER_SGPR: 6
; COMPUTE_PGM_RSRC2:TRAP_HANDLER: 0
; COMPUTE_PGM_RSRC2:TGID_X_EN: 1
; COMPUTE_PGM_RSRC2:TGID_Y_EN: 0
; COMPUTE_PGM_RSRC2:TGID_Z_EN: 0
; COMPUTE_PGM_RSRC2:TIDIG_COMP_CNT: 0
	.section	.text._ZN9rocsparseL23gebsr2gebsr_fast_kernelIL20rocsparse_direction_1ELi16ELi8E21rocsparse_complex_numIfEEEvii21rocsparse_index_base_PKT2_PKiS9_iiiiS4_PS5_PiSB_ii,"axG",@progbits,_ZN9rocsparseL23gebsr2gebsr_fast_kernelIL20rocsparse_direction_1ELi16ELi8E21rocsparse_complex_numIfEEEvii21rocsparse_index_base_PKT2_PKiS9_iiiiS4_PS5_PiSB_ii,comdat
	.globl	_ZN9rocsparseL23gebsr2gebsr_fast_kernelIL20rocsparse_direction_1ELi16ELi8E21rocsparse_complex_numIfEEEvii21rocsparse_index_base_PKT2_PKiS9_iiiiS4_PS5_PiSB_ii ; -- Begin function _ZN9rocsparseL23gebsr2gebsr_fast_kernelIL20rocsparse_direction_1ELi16ELi8E21rocsparse_complex_numIfEEEvii21rocsparse_index_base_PKT2_PKiS9_iiiiS4_PS5_PiSB_ii
	.p2align	8
	.type	_ZN9rocsparseL23gebsr2gebsr_fast_kernelIL20rocsparse_direction_1ELi16ELi8E21rocsparse_complex_numIfEEEvii21rocsparse_index_base_PKT2_PKiS9_iiiiS4_PS5_PiSB_ii,@function
_ZN9rocsparseL23gebsr2gebsr_fast_kernelIL20rocsparse_direction_1ELi16ELi8E21rocsparse_complex_numIfEEEvii21rocsparse_index_base_PKT2_PKiS9_iiiiS4_PS5_PiSB_ii: ; @_ZN9rocsparseL23gebsr2gebsr_fast_kernelIL20rocsparse_direction_1ELi16ELi8E21rocsparse_complex_numIfEEEvii21rocsparse_index_base_PKT2_PKiS9_iiiiS4_PS5_PiSB_ii
; %bb.0:
	s_load_dwordx4 s[8:11], s[4:5], 0x28
	s_load_dword s33, s[4:5], 0x38
	s_load_dwordx2 s[12:13], s[4:5], 0x58
	v_lshrrev_b32_e32 v4, 3, v0
	s_lshl_b32 s2, s6, 1
	s_waitcnt lgkmcnt(0)
	s_abs_i32 s3, s8
	v_cvt_f32_u32_e32 v1, s3
	s_sub_i32 s0, 0, s3
	v_and_b32_e32 v0, 7, v0
	s_load_dword s6, s[4:5], 0x0
	s_load_dword s38, s[4:5], 0x8
	v_rcp_iflag_f32_e32 v1, v1
	v_cmp_gt_i32_e32 vcc, s12, v0
	v_mov_b32_e32 v7, 0
	v_mov_b32_e32 v8, 0
	v_mul_f32_e32 v1, 0x4f7ffffe, v1
	v_cvt_u32_f32_e32 v5, v1
	v_or_b32_e32 v1, s2, v4
	v_mul_lo_u32 v6, s0, v5
	v_mad_u64_u32 v[2:3], s[0:1], v1, s12, v[0:1]
	v_mul_hi_u32 v3, v5, v6
	v_sub_u32_e32 v6, 0, v2
	v_max_i32_e32 v6, v2, v6
	v_xor_b32_e32 v2, s8, v2
	v_add_u32_e32 v3, v5, v3
	v_mul_hi_u32 v3, v6, v3
	v_ashrrev_i32_e32 v5, 31, v2
	v_mul_lo_u32 v9, v3, s3
	v_add_u32_e32 v2, 1, v3
	v_sub_u32_e32 v6, v6, v9
	v_cmp_le_u32_e64 s[0:1], s3, v6
	v_cndmask_b32_e64 v2, v3, v2, s[0:1]
	v_subrev_u32_e32 v3, s3, v6
	v_cndmask_b32_e64 v3, v6, v3, s[0:1]
	v_add_u32_e32 v6, 1, v2
	v_cmp_le_u32_e64 s[0:1], s3, v3
	v_cndmask_b32_e64 v2, v2, v6, s[0:1]
	v_xor_b32_e32 v6, v2, v5
	v_sub_u32_e32 v2, v6, v5
	s_waitcnt lgkmcnt(0)
	v_cmp_gt_i32_e64 s[0:1], s6, v2
	s_and_b64 s[6:7], vcc, s[0:1]
	v_mov_b32_e32 v9, 0
	s_and_saveexec_b64 s[0:1], s[6:7]
	s_cbranch_execnz .LBB35_3
; %bb.1:
	s_or_b64 exec, exec, s[0:1]
	v_cmp_gt_i32_e32 vcc, s10, v1
	s_and_saveexec_b64 s[0:1], vcc
	s_cbranch_execnz .LBB35_4
.LBB35_2:
	s_or_b64 exec, exec, s[0:1]
	s_cmp_lt_i32 s11, 1
	s_cbranch_scc0 .LBB35_5
	s_branch .LBB35_31
.LBB35_3:
	s_load_dwordx2 s[6:7], s[4:5], 0x18
	v_ashrrev_i32_e32 v3, 31, v2
	v_lshlrev_b64 v[2:3], 2, v[2:3]
	s_waitcnt lgkmcnt(0)
	v_mov_b32_e32 v8, s7
	v_add_co_u32_e32 v2, vcc, s6, v2
	v_addc_co_u32_e32 v3, vcc, v8, v3, vcc
	global_load_dwordx2 v[2:3], v[2:3], off
	s_waitcnt vmcnt(0)
	v_subrev_u32_e32 v9, s38, v2
	v_subrev_u32_e32 v8, s38, v3
	s_or_b64 exec, exec, s[0:1]
	v_cmp_gt_i32_e32 vcc, s10, v1
	s_and_saveexec_b64 s[0:1], vcc
	s_cbranch_execz .LBB35_2
.LBB35_4:
	s_load_dwordx2 s[6:7], s[4:5], 0x48
	v_ashrrev_i32_e32 v2, 31, v1
	v_lshlrev_b64 v[1:2], 2, v[1:2]
	s_waitcnt lgkmcnt(0)
	v_mov_b32_e32 v3, s7
	v_add_co_u32_e32 v1, vcc, s6, v1
	v_addc_co_u32_e32 v2, vcc, v3, v2, vcc
	global_load_dword v1, v[1:2], off
	s_waitcnt vmcnt(0)
	v_subrev_u32_e32 v7, s33, v1
	s_or_b64 exec, exec, s[0:1]
	s_cmp_lt_i32 s11, 1
	s_cbranch_scc1 .LBB35_31
.LBB35_5:
	s_cmp_gt_i32 s9, 0
	s_cselect_b64 s[20:21], -1, 0
	s_abs_i32 s10, s13
	v_cvt_f32_u32_e32 v1, s10
	s_sub_i32 s3, 0, s10
	s_load_dwordx2 s[6:7], s[4:5], 0x50
	s_load_dwordx2 s[14:15], s[4:5], 0x40
	;; [unrolled: 1-line block ×4, first 2 shown]
	v_add_u32_e32 v4, s2, v4
	v_rcp_iflag_f32_e32 v1, v1
	v_cmp_eq_u32_e64 s[0:1], 7, v0
	v_add_u32_e32 v10, -1, v7
	s_ashr_i32 s39, s13, 31
	v_mul_f32_e32 v1, 0x4f7ffffe, v1
	v_cvt_u32_f32_e32 v3, v1
	v_mbcnt_lo_u32_b32 v1, -1, 0
	v_mbcnt_hi_u32_b32 v11, -1, v1
	v_lshl_or_b32 v11, v11, 2, 28
	v_mul_lo_u32 v2, s3, v3
	s_mul_i32 s40, s9, s8
	s_mov_b64 s[4:5], 0
	v_mov_b32_e32 v13, 0
	v_mul_hi_u32 v12, v3, v2
	v_mad_u64_u32 v[1:2], s[2:3], s12, v4, v[0:1]
	v_sub_u32_e32 v2, v5, v6
	v_add_u32_e32 v12, v3, v12
	v_cndmask_b32_e64 v3, 0, 1, s[20:21]
	v_mov_b32_e32 v5, 0
	v_cmp_ne_u32_e64 s[2:3], 1, v3
	s_branch .LBB35_7
.LBB35_6:                               ;   in Loop: Header=BB35_7 Depth=1
	s_or_b64 exec, exec, s[20:21]
	s_waitcnt lgkmcnt(0)
	v_add_u32_e32 v5, 1, v14
	v_cmp_le_i32_e32 vcc, s11, v5
	s_or_b64 s[4:5], vcc, s[4:5]
	s_andn2_b64 exec, exec, s[4:5]
	s_cbranch_execz .LBB35_31
.LBB35_7:                               ; =>This Loop Header: Depth=1
                                        ;     Child Loop BB35_11 Depth 2
                                        ;       Child Loop BB35_13 Depth 3
                                        ;     Child Loop BB35_21 Depth 2
                                        ;       Child Loop BB35_24 Depth 3
	v_cmp_lt_i32_e32 vcc, v9, v8
	v_mov_b32_e32 v6, s11
	s_and_saveexec_b64 s[20:21], vcc
	s_cbranch_execz .LBB35_16
; %bb.8:                                ;   in Loop: Header=BB35_7 Depth=1
	s_mov_b64 s[22:23], 0
	v_mov_b32_e32 v6, s11
	v_mov_b32_e32 v3, v9
	s_branch .LBB35_11
.LBB35_9:                               ;   in Loop: Header=BB35_11 Depth=2
	s_mov_b64 s[24:25], 0
.LBB35_10:                              ;   in Loop: Header=BB35_11 Depth=2
	v_add_u32_e32 v3, 1, v3
	v_cmp_ge_i32_e32 vcc, v3, v8
	s_or_b64 s[24:25], s[24:25], vcc
	s_and_b64 s[24:25], exec, s[24:25]
	s_or_b64 s[22:23], s[24:25], s[22:23]
	s_andn2_b64 exec, exec, s[22:23]
	s_cbranch_execz .LBB35_15
.LBB35_11:                              ;   Parent Loop BB35_7 Depth=1
                                        ; =>  This Loop Header: Depth=2
                                        ;       Child Loop BB35_13 Depth 3
	s_and_b64 vcc, exec, s[2:3]
	s_cbranch_vccnz .LBB35_9
; %bb.12:                               ;   in Loop: Header=BB35_11 Depth=2
	v_ashrrev_i32_e32 v4, 31, v3
	v_lshlrev_b64 v[14:15], 2, v[3:4]
	s_waitcnt lgkmcnt(0)
	v_mov_b32_e32 v4, s19
	v_add_co_u32_e32 v14, vcc, s18, v14
	v_addc_co_u32_e32 v15, vcc, v4, v15, vcc
	global_load_dword v4, v[14:15], off
	s_mov_b32 s30, 0
	s_mov_b64 s[28:29], 0
	s_mov_b64 s[26:27], 0
                                        ; implicit-def: $sgpr24_sgpr25
	s_waitcnt vmcnt(0)
	v_subrev_u32_e32 v4, s38, v4
	v_mul_lo_u32 v4, v4, s9
.LBB35_13:                              ;   Parent Loop BB35_7 Depth=1
                                        ;     Parent Loop BB35_11 Depth=2
                                        ; =>    This Inner Loop Header: Depth=3
	v_add_u32_e32 v14, s30, v4
	v_sub_u32_e32 v16, 0, v14
	v_ashrrev_i32_e32 v15, 31, v14
	v_max_i32_e32 v14, v14, v16
	v_mul_hi_u32 v16, v14, v12
	v_xor_b32_e32 v15, s39, v15
	s_add_i32 s30, s30, 1
	v_mul_lo_u32 v17, v16, s10
	v_add_u32_e32 v18, 1, v16
	v_sub_u32_e32 v14, v14, v17
	v_cmp_le_u32_e32 vcc, s10, v14
	v_subrev_u32_e32 v17, s10, v14
	v_cndmask_b32_e32 v16, v16, v18, vcc
	v_cndmask_b32_e32 v14, v14, v17, vcc
	v_add_u32_e32 v17, 1, v16
	v_cmp_le_u32_e32 vcc, s10, v14
	v_cndmask_b32_e32 v14, v16, v17, vcc
	v_xor_b32_e32 v14, v14, v15
	v_sub_u32_e32 v14, v14, v15
	v_cmp_ge_i32_e32 vcc, v14, v5
	s_or_b64 s[28:29], vcc, s[28:29]
	s_cmp_ge_i32 s30, s9
	s_cselect_b64 s[34:35], -1, 0
	s_or_b64 s[34:35], vcc, s[34:35]
	s_and_b64 s[34:35], exec, s[34:35]
	s_or_b64 s[26:27], s[34:35], s[26:27]
	s_andn2_b64 s[24:25], s[24:25], exec
	s_and_b64 s[34:35], s[28:29], exec
	v_cndmask_b32_e32 v6, v6, v14, vcc
	v_cndmask_b32_e32 v9, v9, v3, vcc
	s_or_b64 s[24:25], s[24:25], s[34:35]
	s_andn2_b64 exec, exec, s[26:27]
	s_cbranch_execnz .LBB35_13
; %bb.14:                               ;   in Loop: Header=BB35_11 Depth=2
	s_or_b64 exec, exec, s[26:27]
	s_branch .LBB35_10
.LBB35_15:                              ;   in Loop: Header=BB35_7 Depth=1
	s_or_b64 exec, exec, s[22:23]
.LBB35_16:                              ;   in Loop: Header=BB35_7 Depth=1
	s_or_b64 exec, exec, s[20:21]
	v_mov_b32_dpp v3, v6 row_shr:1 row_mask:0xf bank_mask:0xf
	v_min_i32_e32 v3, v3, v6
	s_nop 1
	v_mov_b32_dpp v4, v3 row_shr:2 row_mask:0xf bank_mask:0xf
	v_min_i32_e32 v3, v4, v3
	s_nop 1
	v_mov_b32_dpp v4, v3 row_shr:4 row_mask:0xf bank_mask:0xe
	v_min_i32_e32 v3, v4, v3
	v_cmp_gt_i32_e32 vcc, s11, v3
	s_and_b64 s[22:23], s[0:1], vcc
	s_and_saveexec_b64 s[20:21], s[22:23]
	s_cbranch_execz .LBB35_18
; %bb.17:                               ;   in Loop: Header=BB35_7 Depth=1
	v_add_u32_e32 v4, v13, v7
	v_ashrrev_i32_e32 v5, 31, v4
	v_lshlrev_b64 v[4:5], 2, v[4:5]
	v_add_u32_e32 v6, 1, v13
	s_waitcnt lgkmcnt(0)
	v_mov_b32_e32 v13, s7
	v_add_co_u32_e32 v4, vcc, s6, v4
	v_addc_co_u32_e32 v5, vcc, v13, v5, vcc
	v_add_u32_e32 v13, s33, v3
	global_store_dword v[4:5], v13, off
	v_mov_b32_e32 v13, v6
.LBB35_18:                              ;   in Loop: Header=BB35_7 Depth=1
	s_or_b64 exec, exec, s[20:21]
	ds_bpermute_b32 v14, v11, v3
	ds_bpermute_b32 v13, v11, v13
	v_cmp_lt_i32_e32 vcc, v9, v8
	s_and_saveexec_b64 s[20:21], vcc
	s_cbranch_execz .LBB35_6
; %bb.19:                               ;   in Loop: Header=BB35_7 Depth=1
	v_mad_u64_u32 v[3:4], s[22:23], s9, v9, v[2:3]
	s_waitcnt lgkmcnt(0)
	v_add_u32_e32 v5, v10, v13
	v_mul_lo_u32 v15, v5, s13
	v_mul_lo_u32 v16, v14, s13
	v_mad_u64_u32 v[3:4], s[22:23], s8, v3, v[1:2]
	s_mov_b64 s[22:23], 0
	v_mov_b32_e32 v4, v9
	s_branch .LBB35_21
.LBB35_20:                              ;   in Loop: Header=BB35_21 Depth=2
	s_or_b64 exec, exec, s[28:29]
	s_and_b64 s[24:25], exec, s[24:25]
	s_or_b64 s[22:23], s[24:25], s[22:23]
	s_andn2_b64 exec, exec, s[22:23]
	s_cbranch_execz .LBB35_6
.LBB35_21:                              ;   Parent Loop BB35_7 Depth=1
                                        ; =>  This Loop Header: Depth=2
                                        ;       Child Loop BB35_24 Depth 3
	s_mov_b64 s[24:25], -1
	s_and_b64 vcc, exec, s[2:3]
	s_mov_b64 s[26:27], -1
	s_cbranch_vccnz .LBB35_29
; %bb.22:                               ;   in Loop: Header=BB35_21 Depth=2
	v_ashrrev_i32_e32 v5, 31, v4
	v_lshlrev_b64 v[5:6], 2, v[4:5]
	v_mov_b32_e32 v17, s19
	v_add_co_u32_e32 v5, vcc, s18, v5
	v_addc_co_u32_e32 v6, vcc, v17, v6, vcc
	global_load_dword v5, v[5:6], off
	s_mov_b64 s[28:29], 0
	s_mov_b32 s41, s9
                                        ; implicit-def: $sgpr26_sgpr27
	s_waitcnt vmcnt(0)
	v_subrev_u32_e32 v5, s38, v5
	v_mul_lo_u32 v17, v5, s9
	v_mov_b32_e32 v5, v3
	s_branch .LBB35_24
.LBB35_23:                              ;   in Loop: Header=BB35_24 Depth=3
	s_or_b64 exec, exec, s[36:37]
	s_xor_b64 s[34:35], s[34:35], -1
	s_and_b64 s[30:31], exec, s[30:31]
	s_or_b64 s[28:29], s[30:31], s[28:29]
	s_andn2_b64 s[26:27], s[26:27], exec
	s_and_b64 s[30:31], s[34:35], exec
	s_or_b64 s[26:27], s[26:27], s[30:31]
	s_andn2_b64 exec, exec, s[28:29]
	s_cbranch_execz .LBB35_28
.LBB35_24:                              ;   Parent Loop BB35_7 Depth=1
                                        ;     Parent Loop BB35_21 Depth=2
                                        ; =>    This Inner Loop Header: Depth=3
	v_sub_u32_e32 v6, 0, v17
	v_max_i32_e32 v6, v17, v6
	v_mul_hi_u32 v18, v6, v12
	v_ashrrev_i32_e32 v20, 31, v17
	v_xor_b32_e32 v20, s39, v20
	v_mul_lo_u32 v19, v18, s10
	v_add_u32_e32 v21, 1, v18
	v_sub_u32_e32 v6, v6, v19
	v_cmp_le_u32_e32 vcc, s10, v6
	v_subrev_u32_e32 v19, s10, v6
	v_cndmask_b32_e32 v18, v18, v21, vcc
	v_cndmask_b32_e32 v6, v6, v19, vcc
	v_add_u32_e32 v19, 1, v18
	v_cmp_le_u32_e32 vcc, s10, v6
	v_cndmask_b32_e32 v6, v18, v19, vcc
	v_xor_b32_e32 v6, v6, v20
	v_sub_u32_e32 v18, v6, v20
	v_cmp_eq_u32_e32 vcc, v18, v14
	s_and_saveexec_b64 s[30:31], vcc
	s_cbranch_execz .LBB35_26
; %bb.25:                               ;   in Loop: Header=BB35_24 Depth=3
	v_ashrrev_i32_e32 v6, 31, v5
	v_lshlrev_b64 v[19:20], 3, v[5:6]
	v_mov_b32_e32 v6, s17
	v_add_co_u32_e32 v19, vcc, s16, v19
	v_addc_co_u32_e32 v20, vcc, v6, v20, vcc
	global_load_dwordx2 v[19:20], v[19:20], off
	v_sub_u32_e32 v6, v17, v16
	v_add_u32_e32 v6, v6, v15
	v_mad_u64_u32 v[21:22], s[34:35], v6, s12, v[0:1]
	v_mov_b32_e32 v6, s15
	v_ashrrev_i32_e32 v22, 31, v21
	v_lshlrev_b64 v[21:22], 3, v[21:22]
	v_add_co_u32_e32 v21, vcc, s14, v21
	v_addc_co_u32_e32 v22, vcc, v6, v22, vcc
	s_waitcnt vmcnt(0)
	global_store_dwordx2 v[21:22], v[19:20], off
.LBB35_26:                              ;   in Loop: Header=BB35_24 Depth=3
	s_or_b64 exec, exec, s[30:31]
	v_cmp_le_i32_e32 vcc, v18, v14
	s_mov_b64 s[30:31], -1
	s_mov_b64 s[34:35], -1
	s_and_saveexec_b64 s[36:37], vcc
	s_cbranch_execz .LBB35_23
; %bb.27:                               ;   in Loop: Header=BB35_24 Depth=3
	s_add_i32 s41, s41, -1
	s_cmp_eq_u32 s41, 0
	s_cselect_b64 s[30:31], -1, 0
	v_add_u32_e32 v17, 1, v17
	v_add_u32_e32 v5, s8, v5
	s_xor_b64 s[34:35], exec, -1
	s_orn2_b64 s[30:31], s[30:31], exec
	s_branch .LBB35_23
.LBB35_28:                              ;   in Loop: Header=BB35_21 Depth=2
	s_or_b64 exec, exec, s[28:29]
.LBB35_29:                              ;   in Loop: Header=BB35_21 Depth=2
	s_and_saveexec_b64 s[28:29], s[26:27]
	s_cbranch_execz .LBB35_20
; %bb.30:                               ;   in Loop: Header=BB35_21 Depth=2
	v_add_u32_e32 v4, 1, v4
	v_cmp_ge_i32_e32 vcc, v4, v8
	v_add_u32_e32 v3, s40, v3
	s_orn2_b64 s[24:25], vcc, exec
	s_branch .LBB35_20
.LBB35_31:
	s_endpgm
	.section	.rodata,"a",@progbits
	.p2align	6, 0x0
	.amdhsa_kernel _ZN9rocsparseL23gebsr2gebsr_fast_kernelIL20rocsparse_direction_1ELi16ELi8E21rocsparse_complex_numIfEEEvii21rocsparse_index_base_PKT2_PKiS9_iiiiS4_PS5_PiSB_ii
		.amdhsa_group_segment_fixed_size 0
		.amdhsa_private_segment_fixed_size 0
		.amdhsa_kernarg_size 96
		.amdhsa_user_sgpr_count 6
		.amdhsa_user_sgpr_private_segment_buffer 1
		.amdhsa_user_sgpr_dispatch_ptr 0
		.amdhsa_user_sgpr_queue_ptr 0
		.amdhsa_user_sgpr_kernarg_segment_ptr 1
		.amdhsa_user_sgpr_dispatch_id 0
		.amdhsa_user_sgpr_flat_scratch_init 0
		.amdhsa_user_sgpr_private_segment_size 0
		.amdhsa_uses_dynamic_stack 0
		.amdhsa_system_sgpr_private_segment_wavefront_offset 0
		.amdhsa_system_sgpr_workgroup_id_x 1
		.amdhsa_system_sgpr_workgroup_id_y 0
		.amdhsa_system_sgpr_workgroup_id_z 0
		.amdhsa_system_sgpr_workgroup_info 0
		.amdhsa_system_vgpr_workitem_id 0
		.amdhsa_next_free_vgpr 23
		.amdhsa_next_free_sgpr 42
		.amdhsa_reserve_vcc 1
		.amdhsa_reserve_flat_scratch 0
		.amdhsa_float_round_mode_32 0
		.amdhsa_float_round_mode_16_64 0
		.amdhsa_float_denorm_mode_32 3
		.amdhsa_float_denorm_mode_16_64 3
		.amdhsa_dx10_clamp 1
		.amdhsa_ieee_mode 1
		.amdhsa_fp16_overflow 0
		.amdhsa_exception_fp_ieee_invalid_op 0
		.amdhsa_exception_fp_denorm_src 0
		.amdhsa_exception_fp_ieee_div_zero 0
		.amdhsa_exception_fp_ieee_overflow 0
		.amdhsa_exception_fp_ieee_underflow 0
		.amdhsa_exception_fp_ieee_inexact 0
		.amdhsa_exception_int_div_zero 0
	.end_amdhsa_kernel
	.section	.text._ZN9rocsparseL23gebsr2gebsr_fast_kernelIL20rocsparse_direction_1ELi16ELi8E21rocsparse_complex_numIfEEEvii21rocsparse_index_base_PKT2_PKiS9_iiiiS4_PS5_PiSB_ii,"axG",@progbits,_ZN9rocsparseL23gebsr2gebsr_fast_kernelIL20rocsparse_direction_1ELi16ELi8E21rocsparse_complex_numIfEEEvii21rocsparse_index_base_PKT2_PKiS9_iiiiS4_PS5_PiSB_ii,comdat
.Lfunc_end35:
	.size	_ZN9rocsparseL23gebsr2gebsr_fast_kernelIL20rocsparse_direction_1ELi16ELi8E21rocsparse_complex_numIfEEEvii21rocsparse_index_base_PKT2_PKiS9_iiiiS4_PS5_PiSB_ii, .Lfunc_end35-_ZN9rocsparseL23gebsr2gebsr_fast_kernelIL20rocsparse_direction_1ELi16ELi8E21rocsparse_complex_numIfEEEvii21rocsparse_index_base_PKT2_PKiS9_iiiiS4_PS5_PiSB_ii
                                        ; -- End function
	.set _ZN9rocsparseL23gebsr2gebsr_fast_kernelIL20rocsparse_direction_1ELi16ELi8E21rocsparse_complex_numIfEEEvii21rocsparse_index_base_PKT2_PKiS9_iiiiS4_PS5_PiSB_ii.num_vgpr, 23
	.set _ZN9rocsparseL23gebsr2gebsr_fast_kernelIL20rocsparse_direction_1ELi16ELi8E21rocsparse_complex_numIfEEEvii21rocsparse_index_base_PKT2_PKiS9_iiiiS4_PS5_PiSB_ii.num_agpr, 0
	.set _ZN9rocsparseL23gebsr2gebsr_fast_kernelIL20rocsparse_direction_1ELi16ELi8E21rocsparse_complex_numIfEEEvii21rocsparse_index_base_PKT2_PKiS9_iiiiS4_PS5_PiSB_ii.numbered_sgpr, 42
	.set _ZN9rocsparseL23gebsr2gebsr_fast_kernelIL20rocsparse_direction_1ELi16ELi8E21rocsparse_complex_numIfEEEvii21rocsparse_index_base_PKT2_PKiS9_iiiiS4_PS5_PiSB_ii.num_named_barrier, 0
	.set _ZN9rocsparseL23gebsr2gebsr_fast_kernelIL20rocsparse_direction_1ELi16ELi8E21rocsparse_complex_numIfEEEvii21rocsparse_index_base_PKT2_PKiS9_iiiiS4_PS5_PiSB_ii.private_seg_size, 0
	.set _ZN9rocsparseL23gebsr2gebsr_fast_kernelIL20rocsparse_direction_1ELi16ELi8E21rocsparse_complex_numIfEEEvii21rocsparse_index_base_PKT2_PKiS9_iiiiS4_PS5_PiSB_ii.uses_vcc, 1
	.set _ZN9rocsparseL23gebsr2gebsr_fast_kernelIL20rocsparse_direction_1ELi16ELi8E21rocsparse_complex_numIfEEEvii21rocsparse_index_base_PKT2_PKiS9_iiiiS4_PS5_PiSB_ii.uses_flat_scratch, 0
	.set _ZN9rocsparseL23gebsr2gebsr_fast_kernelIL20rocsparse_direction_1ELi16ELi8E21rocsparse_complex_numIfEEEvii21rocsparse_index_base_PKT2_PKiS9_iiiiS4_PS5_PiSB_ii.has_dyn_sized_stack, 0
	.set _ZN9rocsparseL23gebsr2gebsr_fast_kernelIL20rocsparse_direction_1ELi16ELi8E21rocsparse_complex_numIfEEEvii21rocsparse_index_base_PKT2_PKiS9_iiiiS4_PS5_PiSB_ii.has_recursion, 0
	.set _ZN9rocsparseL23gebsr2gebsr_fast_kernelIL20rocsparse_direction_1ELi16ELi8E21rocsparse_complex_numIfEEEvii21rocsparse_index_base_PKT2_PKiS9_iiiiS4_PS5_PiSB_ii.has_indirect_call, 0
	.section	.AMDGPU.csdata,"",@progbits
; Kernel info:
; codeLenInByte = 1516
; TotalNumSgprs: 46
; NumVgprs: 23
; ScratchSize: 0
; MemoryBound: 0
; FloatMode: 240
; IeeeMode: 1
; LDSByteSize: 0 bytes/workgroup (compile time only)
; SGPRBlocks: 5
; VGPRBlocks: 5
; NumSGPRsForWavesPerEU: 46
; NumVGPRsForWavesPerEU: 23
; Occupancy: 10
; WaveLimiterHint : 0
; COMPUTE_PGM_RSRC2:SCRATCH_EN: 0
; COMPUTE_PGM_RSRC2:USER_SGPR: 6
; COMPUTE_PGM_RSRC2:TRAP_HANDLER: 0
; COMPUTE_PGM_RSRC2:TGID_X_EN: 1
; COMPUTE_PGM_RSRC2:TGID_Y_EN: 0
; COMPUTE_PGM_RSRC2:TGID_Z_EN: 0
; COMPUTE_PGM_RSRC2:TIDIG_COMP_CNT: 0
	.section	.text._ZN9rocsparseL23gebsr2gebsr_fast_kernelIL20rocsparse_direction_1ELi16ELi16E21rocsparse_complex_numIfEEEvii21rocsparse_index_base_PKT2_PKiS9_iiiiS4_PS5_PiSB_ii,"axG",@progbits,_ZN9rocsparseL23gebsr2gebsr_fast_kernelIL20rocsparse_direction_1ELi16ELi16E21rocsparse_complex_numIfEEEvii21rocsparse_index_base_PKT2_PKiS9_iiiiS4_PS5_PiSB_ii,comdat
	.globl	_ZN9rocsparseL23gebsr2gebsr_fast_kernelIL20rocsparse_direction_1ELi16ELi16E21rocsparse_complex_numIfEEEvii21rocsparse_index_base_PKT2_PKiS9_iiiiS4_PS5_PiSB_ii ; -- Begin function _ZN9rocsparseL23gebsr2gebsr_fast_kernelIL20rocsparse_direction_1ELi16ELi16E21rocsparse_complex_numIfEEEvii21rocsparse_index_base_PKT2_PKiS9_iiiiS4_PS5_PiSB_ii
	.p2align	8
	.type	_ZN9rocsparseL23gebsr2gebsr_fast_kernelIL20rocsparse_direction_1ELi16ELi16E21rocsparse_complex_numIfEEEvii21rocsparse_index_base_PKT2_PKiS9_iiiiS4_PS5_PiSB_ii,@function
_ZN9rocsparseL23gebsr2gebsr_fast_kernelIL20rocsparse_direction_1ELi16ELi16E21rocsparse_complex_numIfEEEvii21rocsparse_index_base_PKT2_PKiS9_iiiiS4_PS5_PiSB_ii: ; @_ZN9rocsparseL23gebsr2gebsr_fast_kernelIL20rocsparse_direction_1ELi16ELi16E21rocsparse_complex_numIfEEEvii21rocsparse_index_base_PKT2_PKiS9_iiiiS4_PS5_PiSB_ii
; %bb.0:
	s_load_dwordx4 s[8:11], s[4:5], 0x28
	s_load_dword s33, s[4:5], 0x38
	s_load_dwordx2 s[12:13], s[4:5], 0x58
	s_load_dword s3, s[4:5], 0x0
	s_load_dword s38, s[4:5], 0x8
	s_mov_b32 s39, 0
	s_waitcnt lgkmcnt(0)
	s_abs_i32 s2, s8
	v_cvt_f32_u32_e32 v1, s2
	s_sub_i32 s0, 0, s2
	v_cmp_gt_i32_e32 vcc, s12, v0
	v_mov_b32_e32 v7, 0
	v_rcp_iflag_f32_e32 v1, v1
	v_mov_b32_e32 v8, 0
	v_mul_f32_e32 v1, 0x4f7ffffe, v1
	v_cvt_u32_f32_e32 v2, v1
	v_mul_lo_u32 v1, s0, v2
	s_mul_i32 s0, s12, s6
	v_mul_hi_u32 v3, v2, v1
	v_add_u32_e32 v1, s0, v0
	v_sub_u32_e32 v4, 0, v1
	v_max_i32_e32 v5, v1, v4
	v_add_u32_e32 v2, v2, v3
	v_mul_hi_u32 v2, v5, v2
	v_xor_b32_e32 v4, s8, v1
	v_ashrrev_i32_e32 v4, 31, v4
	v_mul_lo_u32 v3, v2, s2
	v_add_u32_e32 v6, 1, v2
	v_sub_u32_e32 v3, v5, v3
	v_cmp_le_u32_e64 s[0:1], s2, v3
	v_subrev_u32_e32 v5, s2, v3
	v_cndmask_b32_e64 v2, v2, v6, s[0:1]
	v_cndmask_b32_e64 v3, v3, v5, s[0:1]
	v_add_u32_e32 v5, 1, v2
	v_cmp_le_u32_e64 s[0:1], s2, v3
	v_cndmask_b32_e64 v2, v2, v5, s[0:1]
	v_xor_b32_e32 v5, v2, v4
	v_sub_u32_e32 v2, v5, v4
	v_cmp_gt_i32_e64 s[0:1], s3, v2
	s_and_b64 s[2:3], vcc, s[0:1]
	s_and_saveexec_b64 s[0:1], s[2:3]
	s_cbranch_execnz .LBB36_3
; %bb.1:
	s_or_b64 exec, exec, s[0:1]
	s_cmp_ge_i32 s6, s10
	s_cbranch_scc0 .LBB36_4
.LBB36_2:
	s_cmp_lt_i32 s11, 1
	s_cbranch_scc0 .LBB36_5
	s_branch .LBB36_31
.LBB36_3:
	s_load_dwordx2 s[2:3], s[4:5], 0x18
	v_ashrrev_i32_e32 v3, 31, v2
	v_lshlrev_b64 v[2:3], 2, v[2:3]
	s_waitcnt lgkmcnt(0)
	v_mov_b32_e32 v6, s3
	v_add_co_u32_e32 v2, vcc, s2, v2
	v_addc_co_u32_e32 v3, vcc, v6, v3, vcc
	global_load_dwordx2 v[2:3], v[2:3], off
	s_waitcnt vmcnt(0)
	v_subrev_u32_e32 v8, s38, v2
	v_subrev_u32_e32 v7, s38, v3
	s_or_b64 exec, exec, s[0:1]
	s_cmp_ge_i32 s6, s10
	s_cbranch_scc1 .LBB36_2
.LBB36_4:
	s_load_dwordx2 s[0:1], s[4:5], 0x48
	s_ashr_i32 s7, s6, 31
	s_lshl_b64 s[2:3], s[6:7], 2
	s_waitcnt lgkmcnt(0)
	s_add_u32 s0, s0, s2
	s_addc_u32 s1, s1, s3
	s_load_dword s0, s[0:1], 0x0
	s_waitcnt lgkmcnt(0)
	s_sub_i32 s39, s0, s33
	s_cmp_lt_i32 s11, 1
	s_cbranch_scc1 .LBB36_31
.LBB36_5:
	s_cmp_gt_i32 s9, 0
	s_cselect_b64 s[2:3], -1, 0
	s_abs_i32 s10, s13
	v_cvt_f32_u32_e32 v2, s10
	s_load_dwordx2 s[6:7], s[4:5], 0x50
	s_load_dwordx2 s[14:15], s[4:5], 0x40
	;; [unrolled: 1-line block ×4, first 2 shown]
	s_sub_i32 s4, 0, s10
	v_mbcnt_lo_u32_b32 v6, -1, 0
	v_rcp_iflag_f32_e32 v2, v2
	v_mbcnt_hi_u32_b32 v6, -1, v6
	v_cmp_eq_u32_e64 s[0:1], 15, v0
	s_mul_i32 s40, s9, s8
	v_mul_f32_e32 v2, 0x4f7ffffe, v2
	v_cvt_u32_f32_e32 v3, v2
	v_sub_u32_e32 v2, v4, v5
	v_mov_b32_e32 v5, 0
	s_add_i32 s41, s39, -1
	v_mul_lo_u32 v4, s4, v3
	s_ashr_i32 s42, s13, 31
	v_lshl_or_b32 v9, v6, 2, 60
	s_mov_b64 s[4:5], 0
	v_mul_hi_u32 v4, v3, v4
	v_mov_b32_e32 v11, 0
	v_add_u32_e32 v10, v3, v4
	v_cndmask_b32_e64 v3, 0, 1, s[2:3]
	v_cmp_ne_u32_e64 s[2:3], 1, v3
	s_branch .LBB36_7
.LBB36_6:                               ;   in Loop: Header=BB36_7 Depth=1
	s_or_b64 exec, exec, s[20:21]
	s_waitcnt lgkmcnt(0)
	v_add_u32_e32 v5, 1, v12
	v_cmp_le_i32_e32 vcc, s11, v5
	s_or_b64 s[4:5], vcc, s[4:5]
	s_andn2_b64 exec, exec, s[4:5]
	s_cbranch_execz .LBB36_31
.LBB36_7:                               ; =>This Loop Header: Depth=1
                                        ;     Child Loop BB36_11 Depth 2
                                        ;       Child Loop BB36_13 Depth 3
                                        ;     Child Loop BB36_21 Depth 2
                                        ;       Child Loop BB36_24 Depth 3
	v_cmp_lt_i32_e32 vcc, v8, v7
	v_mov_b32_e32 v6, s11
	s_and_saveexec_b64 s[20:21], vcc
	s_cbranch_execz .LBB36_16
; %bb.8:                                ;   in Loop: Header=BB36_7 Depth=1
	s_mov_b64 s[22:23], 0
	v_mov_b32_e32 v6, s11
	v_mov_b32_e32 v3, v8
	s_branch .LBB36_11
.LBB36_9:                               ;   in Loop: Header=BB36_11 Depth=2
	s_mov_b64 s[24:25], 0
.LBB36_10:                              ;   in Loop: Header=BB36_11 Depth=2
	v_add_u32_e32 v3, 1, v3
	v_cmp_ge_i32_e32 vcc, v3, v7
	s_or_b64 s[24:25], s[24:25], vcc
	s_and_b64 s[24:25], exec, s[24:25]
	s_or_b64 s[22:23], s[24:25], s[22:23]
	s_andn2_b64 exec, exec, s[22:23]
	s_cbranch_execz .LBB36_15
.LBB36_11:                              ;   Parent Loop BB36_7 Depth=1
                                        ; =>  This Loop Header: Depth=2
                                        ;       Child Loop BB36_13 Depth 3
	s_and_b64 vcc, exec, s[2:3]
	s_cbranch_vccnz .LBB36_9
; %bb.12:                               ;   in Loop: Header=BB36_11 Depth=2
	v_ashrrev_i32_e32 v4, 31, v3
	v_lshlrev_b64 v[12:13], 2, v[3:4]
	s_waitcnt lgkmcnt(0)
	v_mov_b32_e32 v4, s19
	v_add_co_u32_e32 v12, vcc, s18, v12
	v_addc_co_u32_e32 v13, vcc, v4, v13, vcc
	global_load_dword v4, v[12:13], off
	s_mov_b32 s30, 0
	s_mov_b64 s[28:29], 0
	s_mov_b64 s[26:27], 0
                                        ; implicit-def: $sgpr24_sgpr25
	s_waitcnt vmcnt(0)
	v_subrev_u32_e32 v4, s38, v4
	v_mul_lo_u32 v4, v4, s9
.LBB36_13:                              ;   Parent Loop BB36_7 Depth=1
                                        ;     Parent Loop BB36_11 Depth=2
                                        ; =>    This Inner Loop Header: Depth=3
	v_add_u32_e32 v12, s30, v4
	v_sub_u32_e32 v14, 0, v12
	v_ashrrev_i32_e32 v13, 31, v12
	v_max_i32_e32 v12, v12, v14
	v_mul_hi_u32 v14, v12, v10
	v_xor_b32_e32 v13, s42, v13
	s_add_i32 s30, s30, 1
	v_mul_lo_u32 v15, v14, s10
	v_add_u32_e32 v16, 1, v14
	v_sub_u32_e32 v12, v12, v15
	v_cmp_le_u32_e32 vcc, s10, v12
	v_subrev_u32_e32 v15, s10, v12
	v_cndmask_b32_e32 v14, v14, v16, vcc
	v_cndmask_b32_e32 v12, v12, v15, vcc
	v_add_u32_e32 v15, 1, v14
	v_cmp_le_u32_e32 vcc, s10, v12
	v_cndmask_b32_e32 v12, v14, v15, vcc
	v_xor_b32_e32 v12, v12, v13
	v_sub_u32_e32 v12, v12, v13
	v_cmp_ge_i32_e32 vcc, v12, v5
	s_or_b64 s[28:29], vcc, s[28:29]
	s_cmp_ge_i32 s30, s9
	s_cselect_b64 s[34:35], -1, 0
	s_or_b64 s[34:35], vcc, s[34:35]
	s_and_b64 s[34:35], exec, s[34:35]
	s_or_b64 s[26:27], s[34:35], s[26:27]
	s_andn2_b64 s[24:25], s[24:25], exec
	s_and_b64 s[34:35], s[28:29], exec
	v_cndmask_b32_e32 v6, v6, v12, vcc
	v_cndmask_b32_e32 v8, v8, v3, vcc
	s_or_b64 s[24:25], s[24:25], s[34:35]
	s_andn2_b64 exec, exec, s[26:27]
	s_cbranch_execnz .LBB36_13
; %bb.14:                               ;   in Loop: Header=BB36_11 Depth=2
	s_or_b64 exec, exec, s[26:27]
	s_branch .LBB36_10
.LBB36_15:                              ;   in Loop: Header=BB36_7 Depth=1
	s_or_b64 exec, exec, s[22:23]
.LBB36_16:                              ;   in Loop: Header=BB36_7 Depth=1
	s_or_b64 exec, exec, s[20:21]
	v_mov_b32_dpp v3, v6 row_shr:1 row_mask:0xf bank_mask:0xf
	v_min_i32_e32 v3, v3, v6
	s_nop 1
	v_mov_b32_dpp v4, v3 row_shr:2 row_mask:0xf bank_mask:0xf
	v_min_i32_e32 v3, v4, v3
	s_nop 1
	;; [unrolled: 3-line block ×3, first 2 shown]
	v_mov_b32_dpp v4, v3 row_shr:8 row_mask:0xf bank_mask:0xc
	v_min_i32_e32 v3, v4, v3
	v_cmp_gt_i32_e32 vcc, s11, v3
	s_and_b64 s[22:23], s[0:1], vcc
	s_and_saveexec_b64 s[20:21], s[22:23]
	s_cbranch_execz .LBB36_18
; %bb.17:                               ;   in Loop: Header=BB36_7 Depth=1
	v_add_u32_e32 v4, s39, v11
	v_ashrrev_i32_e32 v5, 31, v4
	v_lshlrev_b64 v[4:5], 2, v[4:5]
	v_add_u32_e32 v6, 1, v11
	s_waitcnt lgkmcnt(0)
	v_mov_b32_e32 v11, s7
	v_add_co_u32_e32 v4, vcc, s6, v4
	v_addc_co_u32_e32 v5, vcc, v11, v5, vcc
	v_add_u32_e32 v11, s33, v3
	global_store_dword v[4:5], v11, off
	v_mov_b32_e32 v11, v6
.LBB36_18:                              ;   in Loop: Header=BB36_7 Depth=1
	s_or_b64 exec, exec, s[20:21]
	ds_bpermute_b32 v12, v9, v3
	ds_bpermute_b32 v11, v9, v11
	v_cmp_lt_i32_e32 vcc, v8, v7
	s_and_saveexec_b64 s[20:21], vcc
	s_cbranch_execz .LBB36_6
; %bb.19:                               ;   in Loop: Header=BB36_7 Depth=1
	v_mad_u64_u32 v[3:4], s[22:23], s9, v8, v[2:3]
	s_waitcnt lgkmcnt(0)
	v_add_u32_e32 v5, s41, v11
	v_mul_lo_u32 v13, v5, s13
	v_mul_lo_u32 v14, v12, s13
	v_mad_u64_u32 v[3:4], s[22:23], s8, v3, v[1:2]
	s_mov_b64 s[22:23], 0
	v_mov_b32_e32 v4, v8
	s_branch .LBB36_21
.LBB36_20:                              ;   in Loop: Header=BB36_21 Depth=2
	s_or_b64 exec, exec, s[28:29]
	s_and_b64 s[24:25], exec, s[24:25]
	s_or_b64 s[22:23], s[24:25], s[22:23]
	s_andn2_b64 exec, exec, s[22:23]
	s_cbranch_execz .LBB36_6
.LBB36_21:                              ;   Parent Loop BB36_7 Depth=1
                                        ; =>  This Loop Header: Depth=2
                                        ;       Child Loop BB36_24 Depth 3
	s_mov_b64 s[24:25], -1
	s_and_b64 vcc, exec, s[2:3]
	s_mov_b64 s[26:27], -1
	s_cbranch_vccnz .LBB36_29
; %bb.22:                               ;   in Loop: Header=BB36_21 Depth=2
	v_ashrrev_i32_e32 v5, 31, v4
	v_lshlrev_b64 v[5:6], 2, v[4:5]
	v_mov_b32_e32 v15, s19
	v_add_co_u32_e32 v5, vcc, s18, v5
	v_addc_co_u32_e32 v6, vcc, v15, v6, vcc
	global_load_dword v5, v[5:6], off
	s_mov_b64 s[28:29], 0
	s_mov_b32 s43, s9
                                        ; implicit-def: $sgpr26_sgpr27
	s_waitcnt vmcnt(0)
	v_subrev_u32_e32 v5, s38, v5
	v_mul_lo_u32 v15, v5, s9
	v_mov_b32_e32 v5, v3
	s_branch .LBB36_24
.LBB36_23:                              ;   in Loop: Header=BB36_24 Depth=3
	s_or_b64 exec, exec, s[36:37]
	s_xor_b64 s[34:35], s[34:35], -1
	s_and_b64 s[30:31], exec, s[30:31]
	s_or_b64 s[28:29], s[30:31], s[28:29]
	s_andn2_b64 s[26:27], s[26:27], exec
	s_and_b64 s[30:31], s[34:35], exec
	s_or_b64 s[26:27], s[26:27], s[30:31]
	s_andn2_b64 exec, exec, s[28:29]
	s_cbranch_execz .LBB36_28
.LBB36_24:                              ;   Parent Loop BB36_7 Depth=1
                                        ;     Parent Loop BB36_21 Depth=2
                                        ; =>    This Inner Loop Header: Depth=3
	v_sub_u32_e32 v6, 0, v15
	v_max_i32_e32 v6, v15, v6
	v_mul_hi_u32 v16, v6, v10
	v_ashrrev_i32_e32 v18, 31, v15
	v_xor_b32_e32 v18, s42, v18
	v_mul_lo_u32 v17, v16, s10
	v_add_u32_e32 v19, 1, v16
	v_sub_u32_e32 v6, v6, v17
	v_cmp_le_u32_e32 vcc, s10, v6
	v_subrev_u32_e32 v17, s10, v6
	v_cndmask_b32_e32 v16, v16, v19, vcc
	v_cndmask_b32_e32 v6, v6, v17, vcc
	v_add_u32_e32 v17, 1, v16
	v_cmp_le_u32_e32 vcc, s10, v6
	v_cndmask_b32_e32 v6, v16, v17, vcc
	v_xor_b32_e32 v6, v6, v18
	v_sub_u32_e32 v16, v6, v18
	v_cmp_eq_u32_e32 vcc, v16, v12
	s_and_saveexec_b64 s[30:31], vcc
	s_cbranch_execz .LBB36_26
; %bb.25:                               ;   in Loop: Header=BB36_24 Depth=3
	v_ashrrev_i32_e32 v6, 31, v5
	v_lshlrev_b64 v[17:18], 3, v[5:6]
	v_mov_b32_e32 v6, s17
	v_add_co_u32_e32 v17, vcc, s16, v17
	v_addc_co_u32_e32 v18, vcc, v6, v18, vcc
	global_load_dwordx2 v[17:18], v[17:18], off
	v_sub_u32_e32 v6, v15, v14
	v_add_u32_e32 v6, v6, v13
	v_mad_u64_u32 v[19:20], s[34:35], v6, s12, v[0:1]
	v_mov_b32_e32 v6, s15
	v_ashrrev_i32_e32 v20, 31, v19
	v_lshlrev_b64 v[19:20], 3, v[19:20]
	v_add_co_u32_e32 v19, vcc, s14, v19
	v_addc_co_u32_e32 v20, vcc, v6, v20, vcc
	s_waitcnt vmcnt(0)
	global_store_dwordx2 v[19:20], v[17:18], off
.LBB36_26:                              ;   in Loop: Header=BB36_24 Depth=3
	s_or_b64 exec, exec, s[30:31]
	v_cmp_le_i32_e32 vcc, v16, v12
	s_mov_b64 s[30:31], -1
	s_mov_b64 s[34:35], -1
	s_and_saveexec_b64 s[36:37], vcc
	s_cbranch_execz .LBB36_23
; %bb.27:                               ;   in Loop: Header=BB36_24 Depth=3
	s_add_i32 s43, s43, -1
	s_cmp_eq_u32 s43, 0
	s_cselect_b64 s[30:31], -1, 0
	v_add_u32_e32 v15, 1, v15
	v_add_u32_e32 v5, s8, v5
	s_xor_b64 s[34:35], exec, -1
	s_orn2_b64 s[30:31], s[30:31], exec
	s_branch .LBB36_23
.LBB36_28:                              ;   in Loop: Header=BB36_21 Depth=2
	s_or_b64 exec, exec, s[28:29]
.LBB36_29:                              ;   in Loop: Header=BB36_21 Depth=2
	s_and_saveexec_b64 s[28:29], s[26:27]
	s_cbranch_execz .LBB36_20
; %bb.30:                               ;   in Loop: Header=BB36_21 Depth=2
	v_add_u32_e32 v4, 1, v4
	v_cmp_ge_i32_e32 vcc, v4, v7
	v_add_u32_e32 v3, s40, v3
	s_orn2_b64 s[24:25], vcc, exec
	s_branch .LBB36_20
.LBB36_31:
	s_endpgm
	.section	.rodata,"a",@progbits
	.p2align	6, 0x0
	.amdhsa_kernel _ZN9rocsparseL23gebsr2gebsr_fast_kernelIL20rocsparse_direction_1ELi16ELi16E21rocsparse_complex_numIfEEEvii21rocsparse_index_base_PKT2_PKiS9_iiiiS4_PS5_PiSB_ii
		.amdhsa_group_segment_fixed_size 0
		.amdhsa_private_segment_fixed_size 0
		.amdhsa_kernarg_size 96
		.amdhsa_user_sgpr_count 6
		.amdhsa_user_sgpr_private_segment_buffer 1
		.amdhsa_user_sgpr_dispatch_ptr 0
		.amdhsa_user_sgpr_queue_ptr 0
		.amdhsa_user_sgpr_kernarg_segment_ptr 1
		.amdhsa_user_sgpr_dispatch_id 0
		.amdhsa_user_sgpr_flat_scratch_init 0
		.amdhsa_user_sgpr_private_segment_size 0
		.amdhsa_uses_dynamic_stack 0
		.amdhsa_system_sgpr_private_segment_wavefront_offset 0
		.amdhsa_system_sgpr_workgroup_id_x 1
		.amdhsa_system_sgpr_workgroup_id_y 0
		.amdhsa_system_sgpr_workgroup_id_z 0
		.amdhsa_system_sgpr_workgroup_info 0
		.amdhsa_system_vgpr_workitem_id 0
		.amdhsa_next_free_vgpr 21
		.amdhsa_next_free_sgpr 44
		.amdhsa_reserve_vcc 1
		.amdhsa_reserve_flat_scratch 0
		.amdhsa_float_round_mode_32 0
		.amdhsa_float_round_mode_16_64 0
		.amdhsa_float_denorm_mode_32 3
		.amdhsa_float_denorm_mode_16_64 3
		.amdhsa_dx10_clamp 1
		.amdhsa_ieee_mode 1
		.amdhsa_fp16_overflow 0
		.amdhsa_exception_fp_ieee_invalid_op 0
		.amdhsa_exception_fp_denorm_src 0
		.amdhsa_exception_fp_ieee_div_zero 0
		.amdhsa_exception_fp_ieee_overflow 0
		.amdhsa_exception_fp_ieee_underflow 0
		.amdhsa_exception_fp_ieee_inexact 0
		.amdhsa_exception_int_div_zero 0
	.end_amdhsa_kernel
	.section	.text._ZN9rocsparseL23gebsr2gebsr_fast_kernelIL20rocsparse_direction_1ELi16ELi16E21rocsparse_complex_numIfEEEvii21rocsparse_index_base_PKT2_PKiS9_iiiiS4_PS5_PiSB_ii,"axG",@progbits,_ZN9rocsparseL23gebsr2gebsr_fast_kernelIL20rocsparse_direction_1ELi16ELi16E21rocsparse_complex_numIfEEEvii21rocsparse_index_base_PKT2_PKiS9_iiiiS4_PS5_PiSB_ii,comdat
.Lfunc_end36:
	.size	_ZN9rocsparseL23gebsr2gebsr_fast_kernelIL20rocsparse_direction_1ELi16ELi16E21rocsparse_complex_numIfEEEvii21rocsparse_index_base_PKT2_PKiS9_iiiiS4_PS5_PiSB_ii, .Lfunc_end36-_ZN9rocsparseL23gebsr2gebsr_fast_kernelIL20rocsparse_direction_1ELi16ELi16E21rocsparse_complex_numIfEEEvii21rocsparse_index_base_PKT2_PKiS9_iiiiS4_PS5_PiSB_ii
                                        ; -- End function
	.set _ZN9rocsparseL23gebsr2gebsr_fast_kernelIL20rocsparse_direction_1ELi16ELi16E21rocsparse_complex_numIfEEEvii21rocsparse_index_base_PKT2_PKiS9_iiiiS4_PS5_PiSB_ii.num_vgpr, 21
	.set _ZN9rocsparseL23gebsr2gebsr_fast_kernelIL20rocsparse_direction_1ELi16ELi16E21rocsparse_complex_numIfEEEvii21rocsparse_index_base_PKT2_PKiS9_iiiiS4_PS5_PiSB_ii.num_agpr, 0
	.set _ZN9rocsparseL23gebsr2gebsr_fast_kernelIL20rocsparse_direction_1ELi16ELi16E21rocsparse_complex_numIfEEEvii21rocsparse_index_base_PKT2_PKiS9_iiiiS4_PS5_PiSB_ii.numbered_sgpr, 44
	.set _ZN9rocsparseL23gebsr2gebsr_fast_kernelIL20rocsparse_direction_1ELi16ELi16E21rocsparse_complex_numIfEEEvii21rocsparse_index_base_PKT2_PKiS9_iiiiS4_PS5_PiSB_ii.num_named_barrier, 0
	.set _ZN9rocsparseL23gebsr2gebsr_fast_kernelIL20rocsparse_direction_1ELi16ELi16E21rocsparse_complex_numIfEEEvii21rocsparse_index_base_PKT2_PKiS9_iiiiS4_PS5_PiSB_ii.private_seg_size, 0
	.set _ZN9rocsparseL23gebsr2gebsr_fast_kernelIL20rocsparse_direction_1ELi16ELi16E21rocsparse_complex_numIfEEEvii21rocsparse_index_base_PKT2_PKiS9_iiiiS4_PS5_PiSB_ii.uses_vcc, 1
	.set _ZN9rocsparseL23gebsr2gebsr_fast_kernelIL20rocsparse_direction_1ELi16ELi16E21rocsparse_complex_numIfEEEvii21rocsparse_index_base_PKT2_PKiS9_iiiiS4_PS5_PiSB_ii.uses_flat_scratch, 0
	.set _ZN9rocsparseL23gebsr2gebsr_fast_kernelIL20rocsparse_direction_1ELi16ELi16E21rocsparse_complex_numIfEEEvii21rocsparse_index_base_PKT2_PKiS9_iiiiS4_PS5_PiSB_ii.has_dyn_sized_stack, 0
	.set _ZN9rocsparseL23gebsr2gebsr_fast_kernelIL20rocsparse_direction_1ELi16ELi16E21rocsparse_complex_numIfEEEvii21rocsparse_index_base_PKT2_PKiS9_iiiiS4_PS5_PiSB_ii.has_recursion, 0
	.set _ZN9rocsparseL23gebsr2gebsr_fast_kernelIL20rocsparse_direction_1ELi16ELi16E21rocsparse_complex_numIfEEEvii21rocsparse_index_base_PKT2_PKiS9_iiiiS4_PS5_PiSB_ii.has_indirect_call, 0
	.section	.AMDGPU.csdata,"",@progbits
; Kernel info:
; codeLenInByte = 1476
; TotalNumSgprs: 48
; NumVgprs: 21
; ScratchSize: 0
; MemoryBound: 0
; FloatMode: 240
; IeeeMode: 1
; LDSByteSize: 0 bytes/workgroup (compile time only)
; SGPRBlocks: 5
; VGPRBlocks: 5
; NumSGPRsForWavesPerEU: 48
; NumVGPRsForWavesPerEU: 21
; Occupancy: 10
; WaveLimiterHint : 0
; COMPUTE_PGM_RSRC2:SCRATCH_EN: 0
; COMPUTE_PGM_RSRC2:USER_SGPR: 6
; COMPUTE_PGM_RSRC2:TRAP_HANDLER: 0
; COMPUTE_PGM_RSRC2:TGID_X_EN: 1
; COMPUTE_PGM_RSRC2:TGID_Y_EN: 0
; COMPUTE_PGM_RSRC2:TGID_Z_EN: 0
; COMPUTE_PGM_RSRC2:TIDIG_COMP_CNT: 0
	.section	.text._ZN9rocsparseL23gebsr2gebsr_fast_kernelIL20rocsparse_direction_1ELi32ELi32E21rocsparse_complex_numIfEEEvii21rocsparse_index_base_PKT2_PKiS9_iiiiS4_PS5_PiSB_ii,"axG",@progbits,_ZN9rocsparseL23gebsr2gebsr_fast_kernelIL20rocsparse_direction_1ELi32ELi32E21rocsparse_complex_numIfEEEvii21rocsparse_index_base_PKT2_PKiS9_iiiiS4_PS5_PiSB_ii,comdat
	.globl	_ZN9rocsparseL23gebsr2gebsr_fast_kernelIL20rocsparse_direction_1ELi32ELi32E21rocsparse_complex_numIfEEEvii21rocsparse_index_base_PKT2_PKiS9_iiiiS4_PS5_PiSB_ii ; -- Begin function _ZN9rocsparseL23gebsr2gebsr_fast_kernelIL20rocsparse_direction_1ELi32ELi32E21rocsparse_complex_numIfEEEvii21rocsparse_index_base_PKT2_PKiS9_iiiiS4_PS5_PiSB_ii
	.p2align	8
	.type	_ZN9rocsparseL23gebsr2gebsr_fast_kernelIL20rocsparse_direction_1ELi32ELi32E21rocsparse_complex_numIfEEEvii21rocsparse_index_base_PKT2_PKiS9_iiiiS4_PS5_PiSB_ii,@function
_ZN9rocsparseL23gebsr2gebsr_fast_kernelIL20rocsparse_direction_1ELi32ELi32E21rocsparse_complex_numIfEEEvii21rocsparse_index_base_PKT2_PKiS9_iiiiS4_PS5_PiSB_ii: ; @_ZN9rocsparseL23gebsr2gebsr_fast_kernelIL20rocsparse_direction_1ELi32ELi32E21rocsparse_complex_numIfEEEvii21rocsparse_index_base_PKT2_PKiS9_iiiiS4_PS5_PiSB_ii
; %bb.0:
	s_load_dwordx4 s[8:11], s[4:5], 0x28
	s_load_dword s33, s[4:5], 0x38
	s_load_dwordx2 s[12:13], s[4:5], 0x58
	s_load_dword s3, s[4:5], 0x0
	s_load_dword s38, s[4:5], 0x8
	s_mov_b32 s39, 0
	s_waitcnt lgkmcnt(0)
	s_abs_i32 s2, s8
	v_cvt_f32_u32_e32 v1, s2
	s_sub_i32 s0, 0, s2
	v_cmp_gt_i32_e32 vcc, s12, v0
	v_mov_b32_e32 v7, 0
	v_rcp_iflag_f32_e32 v1, v1
	v_mov_b32_e32 v8, 0
	v_mul_f32_e32 v1, 0x4f7ffffe, v1
	v_cvt_u32_f32_e32 v2, v1
	v_mul_lo_u32 v1, s0, v2
	s_mul_i32 s0, s12, s6
	v_mul_hi_u32 v3, v2, v1
	v_add_u32_e32 v1, s0, v0
	v_sub_u32_e32 v4, 0, v1
	v_max_i32_e32 v5, v1, v4
	v_add_u32_e32 v2, v2, v3
	v_mul_hi_u32 v2, v5, v2
	v_xor_b32_e32 v4, s8, v1
	v_ashrrev_i32_e32 v4, 31, v4
	v_mul_lo_u32 v3, v2, s2
	v_add_u32_e32 v6, 1, v2
	v_sub_u32_e32 v3, v5, v3
	v_cmp_le_u32_e64 s[0:1], s2, v3
	v_subrev_u32_e32 v5, s2, v3
	v_cndmask_b32_e64 v2, v2, v6, s[0:1]
	v_cndmask_b32_e64 v3, v3, v5, s[0:1]
	v_add_u32_e32 v5, 1, v2
	v_cmp_le_u32_e64 s[0:1], s2, v3
	v_cndmask_b32_e64 v2, v2, v5, s[0:1]
	v_xor_b32_e32 v5, v2, v4
	v_sub_u32_e32 v2, v5, v4
	v_cmp_gt_i32_e64 s[0:1], s3, v2
	s_and_b64 s[2:3], vcc, s[0:1]
	s_and_saveexec_b64 s[0:1], s[2:3]
	s_cbranch_execnz .LBB37_3
; %bb.1:
	s_or_b64 exec, exec, s[0:1]
	s_cmp_ge_i32 s6, s10
	s_cbranch_scc0 .LBB37_4
.LBB37_2:
	s_cmp_lt_i32 s11, 1
	s_cbranch_scc0 .LBB37_5
	s_branch .LBB37_31
.LBB37_3:
	s_load_dwordx2 s[2:3], s[4:5], 0x18
	v_ashrrev_i32_e32 v3, 31, v2
	v_lshlrev_b64 v[2:3], 2, v[2:3]
	s_waitcnt lgkmcnt(0)
	v_mov_b32_e32 v6, s3
	v_add_co_u32_e32 v2, vcc, s2, v2
	v_addc_co_u32_e32 v3, vcc, v6, v3, vcc
	global_load_dwordx2 v[2:3], v[2:3], off
	s_waitcnt vmcnt(0)
	v_subrev_u32_e32 v8, s38, v2
	v_subrev_u32_e32 v7, s38, v3
	s_or_b64 exec, exec, s[0:1]
	s_cmp_ge_i32 s6, s10
	s_cbranch_scc1 .LBB37_2
.LBB37_4:
	s_load_dwordx2 s[0:1], s[4:5], 0x48
	s_ashr_i32 s7, s6, 31
	s_lshl_b64 s[2:3], s[6:7], 2
	s_waitcnt lgkmcnt(0)
	s_add_u32 s0, s0, s2
	s_addc_u32 s1, s1, s3
	s_load_dword s0, s[0:1], 0x0
	s_waitcnt lgkmcnt(0)
	s_sub_i32 s39, s0, s33
	s_cmp_lt_i32 s11, 1
	s_cbranch_scc1 .LBB37_31
.LBB37_5:
	s_cmp_gt_i32 s9, 0
	s_cselect_b64 s[2:3], -1, 0
	s_abs_i32 s10, s13
	v_cvt_f32_u32_e32 v2, s10
	s_load_dwordx2 s[6:7], s[4:5], 0x50
	s_load_dwordx2 s[14:15], s[4:5], 0x40
	;; [unrolled: 1-line block ×4, first 2 shown]
	s_sub_i32 s4, 0, s10
	v_mbcnt_lo_u32_b32 v6, -1, 0
	v_rcp_iflag_f32_e32 v2, v2
	v_mov_b32_e32 v9, 0x7c
	v_cmp_eq_u32_e64 s[0:1], 31, v0
	s_mul_i32 s40, s9, s8
	v_mul_f32_e32 v2, 0x4f7ffffe, v2
	v_cvt_u32_f32_e32 v3, v2
	v_sub_u32_e32 v2, v4, v5
	v_mbcnt_hi_u32_b32 v4, -1, v6
	s_add_i32 s41, s39, -1
	v_mul_lo_u32 v10, s4, v3
	s_ashr_i32 s42, s13, 31
	v_lshl_or_b32 v9, v4, 2, v9
	s_mov_b64 s[4:5], 0
	v_mul_hi_u32 v5, v3, v10
	v_mov_b32_e32 v11, 0
	v_add_u32_e32 v10, v3, v5
	v_cndmask_b32_e64 v3, 0, 1, s[2:3]
	v_mov_b32_e32 v5, 0
	v_cmp_ne_u32_e64 s[2:3], 1, v3
	s_branch .LBB37_7
.LBB37_6:                               ;   in Loop: Header=BB37_7 Depth=1
	s_or_b64 exec, exec, s[20:21]
	s_waitcnt lgkmcnt(0)
	v_add_u32_e32 v5, 1, v12
	v_cmp_le_i32_e32 vcc, s11, v5
	s_or_b64 s[4:5], vcc, s[4:5]
	s_andn2_b64 exec, exec, s[4:5]
	s_cbranch_execz .LBB37_31
.LBB37_7:                               ; =>This Loop Header: Depth=1
                                        ;     Child Loop BB37_11 Depth 2
                                        ;       Child Loop BB37_13 Depth 3
                                        ;     Child Loop BB37_21 Depth 2
                                        ;       Child Loop BB37_24 Depth 3
	v_cmp_lt_i32_e32 vcc, v8, v7
	v_mov_b32_e32 v6, s11
	s_and_saveexec_b64 s[20:21], vcc
	s_cbranch_execz .LBB37_16
; %bb.8:                                ;   in Loop: Header=BB37_7 Depth=1
	s_mov_b64 s[22:23], 0
	v_mov_b32_e32 v6, s11
	v_mov_b32_e32 v3, v8
	s_branch .LBB37_11
.LBB37_9:                               ;   in Loop: Header=BB37_11 Depth=2
	s_mov_b64 s[24:25], 0
.LBB37_10:                              ;   in Loop: Header=BB37_11 Depth=2
	v_add_u32_e32 v3, 1, v3
	v_cmp_ge_i32_e32 vcc, v3, v7
	s_or_b64 s[24:25], s[24:25], vcc
	s_and_b64 s[24:25], exec, s[24:25]
	s_or_b64 s[22:23], s[24:25], s[22:23]
	s_andn2_b64 exec, exec, s[22:23]
	s_cbranch_execz .LBB37_15
.LBB37_11:                              ;   Parent Loop BB37_7 Depth=1
                                        ; =>  This Loop Header: Depth=2
                                        ;       Child Loop BB37_13 Depth 3
	s_and_b64 vcc, exec, s[2:3]
	s_cbranch_vccnz .LBB37_9
; %bb.12:                               ;   in Loop: Header=BB37_11 Depth=2
	v_ashrrev_i32_e32 v4, 31, v3
	v_lshlrev_b64 v[12:13], 2, v[3:4]
	s_waitcnt lgkmcnt(0)
	v_mov_b32_e32 v4, s19
	v_add_co_u32_e32 v12, vcc, s18, v12
	v_addc_co_u32_e32 v13, vcc, v4, v13, vcc
	global_load_dword v4, v[12:13], off
	s_mov_b32 s30, 0
	s_mov_b64 s[28:29], 0
	s_mov_b64 s[26:27], 0
                                        ; implicit-def: $sgpr24_sgpr25
	s_waitcnt vmcnt(0)
	v_subrev_u32_e32 v4, s38, v4
	v_mul_lo_u32 v4, v4, s9
.LBB37_13:                              ;   Parent Loop BB37_7 Depth=1
                                        ;     Parent Loop BB37_11 Depth=2
                                        ; =>    This Inner Loop Header: Depth=3
	v_add_u32_e32 v12, s30, v4
	v_sub_u32_e32 v14, 0, v12
	v_ashrrev_i32_e32 v13, 31, v12
	v_max_i32_e32 v12, v12, v14
	v_mul_hi_u32 v14, v12, v10
	v_xor_b32_e32 v13, s42, v13
	s_add_i32 s30, s30, 1
	v_mul_lo_u32 v15, v14, s10
	v_add_u32_e32 v16, 1, v14
	v_sub_u32_e32 v12, v12, v15
	v_cmp_le_u32_e32 vcc, s10, v12
	v_subrev_u32_e32 v15, s10, v12
	v_cndmask_b32_e32 v14, v14, v16, vcc
	v_cndmask_b32_e32 v12, v12, v15, vcc
	v_add_u32_e32 v15, 1, v14
	v_cmp_le_u32_e32 vcc, s10, v12
	v_cndmask_b32_e32 v12, v14, v15, vcc
	v_xor_b32_e32 v12, v12, v13
	v_sub_u32_e32 v12, v12, v13
	v_cmp_ge_i32_e32 vcc, v12, v5
	s_or_b64 s[28:29], vcc, s[28:29]
	s_cmp_ge_i32 s30, s9
	s_cselect_b64 s[34:35], -1, 0
	s_or_b64 s[34:35], vcc, s[34:35]
	s_and_b64 s[34:35], exec, s[34:35]
	s_or_b64 s[26:27], s[34:35], s[26:27]
	s_andn2_b64 s[24:25], s[24:25], exec
	s_and_b64 s[34:35], s[28:29], exec
	v_cndmask_b32_e32 v6, v6, v12, vcc
	v_cndmask_b32_e32 v8, v8, v3, vcc
	s_or_b64 s[24:25], s[24:25], s[34:35]
	s_andn2_b64 exec, exec, s[26:27]
	s_cbranch_execnz .LBB37_13
; %bb.14:                               ;   in Loop: Header=BB37_11 Depth=2
	s_or_b64 exec, exec, s[26:27]
	s_branch .LBB37_10
.LBB37_15:                              ;   in Loop: Header=BB37_7 Depth=1
	s_or_b64 exec, exec, s[22:23]
.LBB37_16:                              ;   in Loop: Header=BB37_7 Depth=1
	s_or_b64 exec, exec, s[20:21]
	v_mov_b32_dpp v3, v6 row_shr:1 row_mask:0xf bank_mask:0xf
	v_min_i32_e32 v3, v3, v6
	s_nop 1
	v_mov_b32_dpp v4, v3 row_shr:2 row_mask:0xf bank_mask:0xf
	v_min_i32_e32 v3, v4, v3
	s_nop 1
	;; [unrolled: 3-line block ×4, first 2 shown]
	v_mov_b32_dpp v4, v3 row_bcast:15 row_mask:0xa bank_mask:0xf
	v_min_i32_e32 v3, v4, v3
	v_cmp_gt_i32_e32 vcc, s11, v3
	s_and_b64 s[22:23], s[0:1], vcc
	s_and_saveexec_b64 s[20:21], s[22:23]
	s_cbranch_execz .LBB37_18
; %bb.17:                               ;   in Loop: Header=BB37_7 Depth=1
	v_add_u32_e32 v4, s39, v11
	v_ashrrev_i32_e32 v5, 31, v4
	v_lshlrev_b64 v[4:5], 2, v[4:5]
	v_add_u32_e32 v6, 1, v11
	s_waitcnt lgkmcnt(0)
	v_mov_b32_e32 v11, s7
	v_add_co_u32_e32 v4, vcc, s6, v4
	v_addc_co_u32_e32 v5, vcc, v11, v5, vcc
	v_add_u32_e32 v11, s33, v3
	global_store_dword v[4:5], v11, off
	v_mov_b32_e32 v11, v6
.LBB37_18:                              ;   in Loop: Header=BB37_7 Depth=1
	s_or_b64 exec, exec, s[20:21]
	ds_bpermute_b32 v12, v9, v3
	ds_bpermute_b32 v11, v9, v11
	v_cmp_lt_i32_e32 vcc, v8, v7
	s_and_saveexec_b64 s[20:21], vcc
	s_cbranch_execz .LBB37_6
; %bb.19:                               ;   in Loop: Header=BB37_7 Depth=1
	v_mad_u64_u32 v[3:4], s[22:23], s9, v8, v[2:3]
	s_waitcnt lgkmcnt(0)
	v_add_u32_e32 v5, s41, v11
	v_mul_lo_u32 v13, v5, s13
	v_mul_lo_u32 v14, v12, s13
	v_mad_u64_u32 v[3:4], s[22:23], s8, v3, v[1:2]
	s_mov_b64 s[22:23], 0
	v_mov_b32_e32 v4, v8
	s_branch .LBB37_21
.LBB37_20:                              ;   in Loop: Header=BB37_21 Depth=2
	s_or_b64 exec, exec, s[28:29]
	s_and_b64 s[24:25], exec, s[24:25]
	s_or_b64 s[22:23], s[24:25], s[22:23]
	s_andn2_b64 exec, exec, s[22:23]
	s_cbranch_execz .LBB37_6
.LBB37_21:                              ;   Parent Loop BB37_7 Depth=1
                                        ; =>  This Loop Header: Depth=2
                                        ;       Child Loop BB37_24 Depth 3
	s_mov_b64 s[24:25], -1
	s_and_b64 vcc, exec, s[2:3]
	s_mov_b64 s[26:27], -1
	s_cbranch_vccnz .LBB37_29
; %bb.22:                               ;   in Loop: Header=BB37_21 Depth=2
	v_ashrrev_i32_e32 v5, 31, v4
	v_lshlrev_b64 v[5:6], 2, v[4:5]
	v_mov_b32_e32 v15, s19
	v_add_co_u32_e32 v5, vcc, s18, v5
	v_addc_co_u32_e32 v6, vcc, v15, v6, vcc
	global_load_dword v5, v[5:6], off
	s_mov_b64 s[28:29], 0
	s_mov_b32 s43, s9
                                        ; implicit-def: $sgpr26_sgpr27
	s_waitcnt vmcnt(0)
	v_subrev_u32_e32 v5, s38, v5
	v_mul_lo_u32 v15, v5, s9
	v_mov_b32_e32 v5, v3
	s_branch .LBB37_24
.LBB37_23:                              ;   in Loop: Header=BB37_24 Depth=3
	s_or_b64 exec, exec, s[36:37]
	s_xor_b64 s[34:35], s[34:35], -1
	s_and_b64 s[30:31], exec, s[30:31]
	s_or_b64 s[28:29], s[30:31], s[28:29]
	s_andn2_b64 s[26:27], s[26:27], exec
	s_and_b64 s[30:31], s[34:35], exec
	s_or_b64 s[26:27], s[26:27], s[30:31]
	s_andn2_b64 exec, exec, s[28:29]
	s_cbranch_execz .LBB37_28
.LBB37_24:                              ;   Parent Loop BB37_7 Depth=1
                                        ;     Parent Loop BB37_21 Depth=2
                                        ; =>    This Inner Loop Header: Depth=3
	v_sub_u32_e32 v6, 0, v15
	v_max_i32_e32 v6, v15, v6
	v_mul_hi_u32 v16, v6, v10
	v_ashrrev_i32_e32 v18, 31, v15
	v_xor_b32_e32 v18, s42, v18
	v_mul_lo_u32 v17, v16, s10
	v_add_u32_e32 v19, 1, v16
	v_sub_u32_e32 v6, v6, v17
	v_cmp_le_u32_e32 vcc, s10, v6
	v_subrev_u32_e32 v17, s10, v6
	v_cndmask_b32_e32 v16, v16, v19, vcc
	v_cndmask_b32_e32 v6, v6, v17, vcc
	v_add_u32_e32 v17, 1, v16
	v_cmp_le_u32_e32 vcc, s10, v6
	v_cndmask_b32_e32 v6, v16, v17, vcc
	v_xor_b32_e32 v6, v6, v18
	v_sub_u32_e32 v16, v6, v18
	v_cmp_eq_u32_e32 vcc, v16, v12
	s_and_saveexec_b64 s[30:31], vcc
	s_cbranch_execz .LBB37_26
; %bb.25:                               ;   in Loop: Header=BB37_24 Depth=3
	v_ashrrev_i32_e32 v6, 31, v5
	v_lshlrev_b64 v[17:18], 3, v[5:6]
	v_mov_b32_e32 v6, s17
	v_add_co_u32_e32 v17, vcc, s16, v17
	v_addc_co_u32_e32 v18, vcc, v6, v18, vcc
	global_load_dwordx2 v[17:18], v[17:18], off
	v_sub_u32_e32 v6, v15, v14
	v_add_u32_e32 v6, v6, v13
	v_mad_u64_u32 v[19:20], s[34:35], v6, s12, v[0:1]
	v_mov_b32_e32 v6, s15
	v_ashrrev_i32_e32 v20, 31, v19
	v_lshlrev_b64 v[19:20], 3, v[19:20]
	v_add_co_u32_e32 v19, vcc, s14, v19
	v_addc_co_u32_e32 v20, vcc, v6, v20, vcc
	s_waitcnt vmcnt(0)
	global_store_dwordx2 v[19:20], v[17:18], off
.LBB37_26:                              ;   in Loop: Header=BB37_24 Depth=3
	s_or_b64 exec, exec, s[30:31]
	v_cmp_le_i32_e32 vcc, v16, v12
	s_mov_b64 s[30:31], -1
	s_mov_b64 s[34:35], -1
	s_and_saveexec_b64 s[36:37], vcc
	s_cbranch_execz .LBB37_23
; %bb.27:                               ;   in Loop: Header=BB37_24 Depth=3
	s_add_i32 s43, s43, -1
	s_cmp_eq_u32 s43, 0
	s_cselect_b64 s[30:31], -1, 0
	v_add_u32_e32 v15, 1, v15
	v_add_u32_e32 v5, s8, v5
	s_xor_b64 s[34:35], exec, -1
	s_orn2_b64 s[30:31], s[30:31], exec
	s_branch .LBB37_23
.LBB37_28:                              ;   in Loop: Header=BB37_21 Depth=2
	s_or_b64 exec, exec, s[28:29]
.LBB37_29:                              ;   in Loop: Header=BB37_21 Depth=2
	s_and_saveexec_b64 s[28:29], s[26:27]
	s_cbranch_execz .LBB37_20
; %bb.30:                               ;   in Loop: Header=BB37_21 Depth=2
	v_add_u32_e32 v4, 1, v4
	v_cmp_ge_i32_e32 vcc, v4, v7
	v_add_u32_e32 v3, s40, v3
	s_orn2_b64 s[24:25], vcc, exec
	s_branch .LBB37_20
.LBB37_31:
	s_endpgm
	.section	.rodata,"a",@progbits
	.p2align	6, 0x0
	.amdhsa_kernel _ZN9rocsparseL23gebsr2gebsr_fast_kernelIL20rocsparse_direction_1ELi32ELi32E21rocsparse_complex_numIfEEEvii21rocsparse_index_base_PKT2_PKiS9_iiiiS4_PS5_PiSB_ii
		.amdhsa_group_segment_fixed_size 0
		.amdhsa_private_segment_fixed_size 0
		.amdhsa_kernarg_size 96
		.amdhsa_user_sgpr_count 6
		.amdhsa_user_sgpr_private_segment_buffer 1
		.amdhsa_user_sgpr_dispatch_ptr 0
		.amdhsa_user_sgpr_queue_ptr 0
		.amdhsa_user_sgpr_kernarg_segment_ptr 1
		.amdhsa_user_sgpr_dispatch_id 0
		.amdhsa_user_sgpr_flat_scratch_init 0
		.amdhsa_user_sgpr_private_segment_size 0
		.amdhsa_uses_dynamic_stack 0
		.amdhsa_system_sgpr_private_segment_wavefront_offset 0
		.amdhsa_system_sgpr_workgroup_id_x 1
		.amdhsa_system_sgpr_workgroup_id_y 0
		.amdhsa_system_sgpr_workgroup_id_z 0
		.amdhsa_system_sgpr_workgroup_info 0
		.amdhsa_system_vgpr_workitem_id 0
		.amdhsa_next_free_vgpr 21
		.amdhsa_next_free_sgpr 44
		.amdhsa_reserve_vcc 1
		.amdhsa_reserve_flat_scratch 0
		.amdhsa_float_round_mode_32 0
		.amdhsa_float_round_mode_16_64 0
		.amdhsa_float_denorm_mode_32 3
		.amdhsa_float_denorm_mode_16_64 3
		.amdhsa_dx10_clamp 1
		.amdhsa_ieee_mode 1
		.amdhsa_fp16_overflow 0
		.amdhsa_exception_fp_ieee_invalid_op 0
		.amdhsa_exception_fp_denorm_src 0
		.amdhsa_exception_fp_ieee_div_zero 0
		.amdhsa_exception_fp_ieee_overflow 0
		.amdhsa_exception_fp_ieee_underflow 0
		.amdhsa_exception_fp_ieee_inexact 0
		.amdhsa_exception_int_div_zero 0
	.end_amdhsa_kernel
	.section	.text._ZN9rocsparseL23gebsr2gebsr_fast_kernelIL20rocsparse_direction_1ELi32ELi32E21rocsparse_complex_numIfEEEvii21rocsparse_index_base_PKT2_PKiS9_iiiiS4_PS5_PiSB_ii,"axG",@progbits,_ZN9rocsparseL23gebsr2gebsr_fast_kernelIL20rocsparse_direction_1ELi32ELi32E21rocsparse_complex_numIfEEEvii21rocsparse_index_base_PKT2_PKiS9_iiiiS4_PS5_PiSB_ii,comdat
.Lfunc_end37:
	.size	_ZN9rocsparseL23gebsr2gebsr_fast_kernelIL20rocsparse_direction_1ELi32ELi32E21rocsparse_complex_numIfEEEvii21rocsparse_index_base_PKT2_PKiS9_iiiiS4_PS5_PiSB_ii, .Lfunc_end37-_ZN9rocsparseL23gebsr2gebsr_fast_kernelIL20rocsparse_direction_1ELi32ELi32E21rocsparse_complex_numIfEEEvii21rocsparse_index_base_PKT2_PKiS9_iiiiS4_PS5_PiSB_ii
                                        ; -- End function
	.set _ZN9rocsparseL23gebsr2gebsr_fast_kernelIL20rocsparse_direction_1ELi32ELi32E21rocsparse_complex_numIfEEEvii21rocsparse_index_base_PKT2_PKiS9_iiiiS4_PS5_PiSB_ii.num_vgpr, 21
	.set _ZN9rocsparseL23gebsr2gebsr_fast_kernelIL20rocsparse_direction_1ELi32ELi32E21rocsparse_complex_numIfEEEvii21rocsparse_index_base_PKT2_PKiS9_iiiiS4_PS5_PiSB_ii.num_agpr, 0
	.set _ZN9rocsparseL23gebsr2gebsr_fast_kernelIL20rocsparse_direction_1ELi32ELi32E21rocsparse_complex_numIfEEEvii21rocsparse_index_base_PKT2_PKiS9_iiiiS4_PS5_PiSB_ii.numbered_sgpr, 44
	.set _ZN9rocsparseL23gebsr2gebsr_fast_kernelIL20rocsparse_direction_1ELi32ELi32E21rocsparse_complex_numIfEEEvii21rocsparse_index_base_PKT2_PKiS9_iiiiS4_PS5_PiSB_ii.num_named_barrier, 0
	.set _ZN9rocsparseL23gebsr2gebsr_fast_kernelIL20rocsparse_direction_1ELi32ELi32E21rocsparse_complex_numIfEEEvii21rocsparse_index_base_PKT2_PKiS9_iiiiS4_PS5_PiSB_ii.private_seg_size, 0
	.set _ZN9rocsparseL23gebsr2gebsr_fast_kernelIL20rocsparse_direction_1ELi32ELi32E21rocsparse_complex_numIfEEEvii21rocsparse_index_base_PKT2_PKiS9_iiiiS4_PS5_PiSB_ii.uses_vcc, 1
	.set _ZN9rocsparseL23gebsr2gebsr_fast_kernelIL20rocsparse_direction_1ELi32ELi32E21rocsparse_complex_numIfEEEvii21rocsparse_index_base_PKT2_PKiS9_iiiiS4_PS5_PiSB_ii.uses_flat_scratch, 0
	.set _ZN9rocsparseL23gebsr2gebsr_fast_kernelIL20rocsparse_direction_1ELi32ELi32E21rocsparse_complex_numIfEEEvii21rocsparse_index_base_PKT2_PKiS9_iiiiS4_PS5_PiSB_ii.has_dyn_sized_stack, 0
	.set _ZN9rocsparseL23gebsr2gebsr_fast_kernelIL20rocsparse_direction_1ELi32ELi32E21rocsparse_complex_numIfEEEvii21rocsparse_index_base_PKT2_PKiS9_iiiiS4_PS5_PiSB_ii.has_recursion, 0
	.set _ZN9rocsparseL23gebsr2gebsr_fast_kernelIL20rocsparse_direction_1ELi32ELi32E21rocsparse_complex_numIfEEEvii21rocsparse_index_base_PKT2_PKiS9_iiiiS4_PS5_PiSB_ii.has_indirect_call, 0
	.section	.AMDGPU.csdata,"",@progbits
; Kernel info:
; codeLenInByte = 1500
; TotalNumSgprs: 48
; NumVgprs: 21
; ScratchSize: 0
; MemoryBound: 0
; FloatMode: 240
; IeeeMode: 1
; LDSByteSize: 0 bytes/workgroup (compile time only)
; SGPRBlocks: 5
; VGPRBlocks: 5
; NumSGPRsForWavesPerEU: 48
; NumVGPRsForWavesPerEU: 21
; Occupancy: 10
; WaveLimiterHint : 0
; COMPUTE_PGM_RSRC2:SCRATCH_EN: 0
; COMPUTE_PGM_RSRC2:USER_SGPR: 6
; COMPUTE_PGM_RSRC2:TRAP_HANDLER: 0
; COMPUTE_PGM_RSRC2:TGID_X_EN: 1
; COMPUTE_PGM_RSRC2:TGID_Y_EN: 0
; COMPUTE_PGM_RSRC2:TGID_Z_EN: 0
; COMPUTE_PGM_RSRC2:TIDIG_COMP_CNT: 0
	.section	.text._ZN9rocsparseL23gebsr2gebsr_fast_kernelIL20rocsparse_direction_0ELi16ELi2E21rocsparse_complex_numIdEEEvii21rocsparse_index_base_PKT2_PKiS9_iiiiS4_PS5_PiSB_ii,"axG",@progbits,_ZN9rocsparseL23gebsr2gebsr_fast_kernelIL20rocsparse_direction_0ELi16ELi2E21rocsparse_complex_numIdEEEvii21rocsparse_index_base_PKT2_PKiS9_iiiiS4_PS5_PiSB_ii,comdat
	.globl	_ZN9rocsparseL23gebsr2gebsr_fast_kernelIL20rocsparse_direction_0ELi16ELi2E21rocsparse_complex_numIdEEEvii21rocsparse_index_base_PKT2_PKiS9_iiiiS4_PS5_PiSB_ii ; -- Begin function _ZN9rocsparseL23gebsr2gebsr_fast_kernelIL20rocsparse_direction_0ELi16ELi2E21rocsparse_complex_numIdEEEvii21rocsparse_index_base_PKT2_PKiS9_iiiiS4_PS5_PiSB_ii
	.p2align	8
	.type	_ZN9rocsparseL23gebsr2gebsr_fast_kernelIL20rocsparse_direction_0ELi16ELi2E21rocsparse_complex_numIdEEEvii21rocsparse_index_base_PKT2_PKiS9_iiiiS4_PS5_PiSB_ii,@function
_ZN9rocsparseL23gebsr2gebsr_fast_kernelIL20rocsparse_direction_0ELi16ELi2E21rocsparse_complex_numIdEEEvii21rocsparse_index_base_PKT2_PKiS9_iiiiS4_PS5_PiSB_ii: ; @_ZN9rocsparseL23gebsr2gebsr_fast_kernelIL20rocsparse_direction_0ELi16ELi2E21rocsparse_complex_numIdEEEvii21rocsparse_index_base_PKT2_PKiS9_iiiiS4_PS5_PiSB_ii
; %bb.0:
	s_load_dwordx4 s[8:11], s[4:5], 0x28
	s_load_dword s33, s[4:5], 0x38
	s_load_dwordx2 s[12:13], s[4:5], 0x58
	v_lshrrev_b32_e32 v4, 1, v0
	s_lshl_b32 s2, s6, 3
	s_waitcnt lgkmcnt(0)
	s_abs_i32 s3, s8
	v_cvt_f32_u32_e32 v1, s3
	s_sub_i32 s0, 0, s3
	v_and_b32_e32 v0, 1, v0
	s_load_dword s6, s[4:5], 0x0
	s_load_dword s38, s[4:5], 0x8
	v_rcp_iflag_f32_e32 v1, v1
	v_cmp_gt_i32_e32 vcc, s12, v0
	v_mul_f32_e32 v1, 0x4f7ffffe, v1
	v_cvt_u32_f32_e32 v5, v1
	v_or_b32_e32 v1, s2, v4
	v_mul_lo_u32 v6, s0, v5
	v_mad_u64_u32 v[2:3], s[0:1], v1, s12, v[0:1]
	v_mul_hi_u32 v3, v5, v6
	v_sub_u32_e32 v6, 0, v2
	v_max_i32_e32 v7, v2, v6
	v_xor_b32_e32 v2, s8, v2
	v_add_u32_e32 v3, v5, v3
	v_mul_hi_u32 v3, v7, v3
	v_ashrrev_i32_e32 v8, 31, v2
	v_mov_b32_e32 v5, 0
	v_mov_b32_e32 v6, 0
	v_mul_lo_u32 v9, v3, s3
	v_add_u32_e32 v2, 1, v3
	v_sub_u32_e32 v7, v7, v9
	v_cmp_le_u32_e64 s[0:1], s3, v7
	v_cndmask_b32_e64 v2, v3, v2, s[0:1]
	v_subrev_u32_e32 v3, s3, v7
	v_cndmask_b32_e64 v3, v7, v3, s[0:1]
	v_add_u32_e32 v7, 1, v2
	v_cmp_le_u32_e64 s[0:1], s3, v3
	v_cndmask_b32_e64 v2, v2, v7, s[0:1]
	v_xor_b32_e32 v9, v2, v8
	v_sub_u32_e32 v2, v9, v8
	s_waitcnt lgkmcnt(0)
	v_cmp_gt_i32_e64 s[0:1], s6, v2
	s_and_b64 s[6:7], vcc, s[0:1]
	v_mov_b32_e32 v7, 0
	s_and_saveexec_b64 s[0:1], s[6:7]
	s_cbranch_execnz .LBB38_3
; %bb.1:
	s_or_b64 exec, exec, s[0:1]
	v_cmp_gt_i32_e32 vcc, s10, v1
	s_and_saveexec_b64 s[0:1], vcc
	s_cbranch_execnz .LBB38_4
.LBB38_2:
	s_or_b64 exec, exec, s[0:1]
	s_cmp_lt_i32 s11, 1
	s_cbranch_scc0 .LBB38_5
	s_branch .LBB38_31
.LBB38_3:
	s_load_dwordx2 s[6:7], s[4:5], 0x18
	v_ashrrev_i32_e32 v3, 31, v2
	v_lshlrev_b64 v[2:3], 2, v[2:3]
	s_waitcnt lgkmcnt(0)
	v_mov_b32_e32 v6, s7
	v_add_co_u32_e32 v2, vcc, s6, v2
	v_addc_co_u32_e32 v3, vcc, v6, v3, vcc
	global_load_dwordx2 v[2:3], v[2:3], off
	s_waitcnt vmcnt(0)
	v_subrev_u32_e32 v7, s38, v2
	v_subrev_u32_e32 v6, s38, v3
	s_or_b64 exec, exec, s[0:1]
	v_cmp_gt_i32_e32 vcc, s10, v1
	s_and_saveexec_b64 s[0:1], vcc
	s_cbranch_execz .LBB38_2
.LBB38_4:
	s_load_dwordx2 s[6:7], s[4:5], 0x48
	v_ashrrev_i32_e32 v2, 31, v1
	v_lshlrev_b64 v[1:2], 2, v[1:2]
	s_waitcnt lgkmcnt(0)
	v_mov_b32_e32 v3, s7
	v_add_co_u32_e32 v1, vcc, s6, v1
	v_addc_co_u32_e32 v2, vcc, v3, v2, vcc
	global_load_dword v1, v[1:2], off
	s_waitcnt vmcnt(0)
	v_subrev_u32_e32 v5, s33, v1
	s_or_b64 exec, exec, s[0:1]
	s_cmp_lt_i32 s11, 1
	s_cbranch_scc1 .LBB38_31
.LBB38_5:
	s_cmp_gt_i32 s9, 0
	s_cselect_b64 s[20:21], -1, 0
	s_abs_i32 s10, s13
	v_cvt_f32_u32_e32 v1, s10
	v_add_u32_e32 v2, s2, v4
	s_sub_i32 s2, 0, s10
	s_load_dwordx2 s[6:7], s[4:5], 0x50
	s_load_dwordx2 s[14:15], s[4:5], 0x40
	;; [unrolled: 1-line block ×4, first 2 shown]
	v_rcp_iflag_f32_e32 v1, v1
	v_sub_u32_e32 v8, v8, v9
	v_cmp_ne_u32_e64 s[0:1], 0, v0
	s_ashr_i32 s39, s13, 31
	v_mul_f32_e32 v1, 0x4f7ffffe, v1
	v_cvt_u32_f32_e32 v3, v1
	v_mbcnt_lo_u32_b32 v1, -1, 0
	v_mbcnt_hi_u32_b32 v9, -1, v1
	v_lshl_or_b32 v9, v9, 2, 4
	v_mul_lo_u32 v4, s2, v3
	v_mad_u64_u32 v[1:2], s[2:3], s12, v2, v[0:1]
	v_cndmask_b32_e64 v2, 0, 1, s[20:21]
	v_mul_hi_u32 v4, v3, v4
	s_mul_i32 s40, s9, s8
	s_mov_b64 s[4:5], 0
	v_cmp_ne_u32_e64 s[2:3], 1, v2
	v_add_u32_e32 v10, v3, v4
	v_mov_b32_e32 v4, 0
	v_mov_b32_e32 v11, 0
	s_branch .LBB38_7
.LBB38_6:                               ;   in Loop: Header=BB38_7 Depth=1
	s_or_b64 exec, exec, s[20:21]
	s_waitcnt lgkmcnt(0)
	v_add_u32_e32 v4, 1, v12
	v_cmp_le_i32_e32 vcc, s11, v4
	s_or_b64 s[4:5], vcc, s[4:5]
	s_andn2_b64 exec, exec, s[4:5]
	s_cbranch_execz .LBB38_31
.LBB38_7:                               ; =>This Loop Header: Depth=1
                                        ;     Child Loop BB38_11 Depth 2
                                        ;       Child Loop BB38_13 Depth 3
                                        ;     Child Loop BB38_21 Depth 2
                                        ;       Child Loop BB38_24 Depth 3
	v_cmp_lt_i32_e32 vcc, v7, v6
	v_mov_b32_e32 v12, s11
	s_and_saveexec_b64 s[20:21], vcc
	s_cbranch_execz .LBB38_16
; %bb.8:                                ;   in Loop: Header=BB38_7 Depth=1
	s_mov_b64 s[22:23], 0
	v_mov_b32_e32 v12, s11
	v_mov_b32_e32 v2, v7
	s_branch .LBB38_11
.LBB38_9:                               ;   in Loop: Header=BB38_11 Depth=2
	s_mov_b64 s[24:25], 0
.LBB38_10:                              ;   in Loop: Header=BB38_11 Depth=2
	v_add_u32_e32 v2, 1, v2
	v_cmp_ge_i32_e32 vcc, v2, v6
	s_or_b64 s[24:25], s[24:25], vcc
	s_and_b64 s[24:25], exec, s[24:25]
	s_or_b64 s[22:23], s[24:25], s[22:23]
	s_andn2_b64 exec, exec, s[22:23]
	s_cbranch_execz .LBB38_15
.LBB38_11:                              ;   Parent Loop BB38_7 Depth=1
                                        ; =>  This Loop Header: Depth=2
                                        ;       Child Loop BB38_13 Depth 3
	s_and_b64 vcc, exec, s[2:3]
	s_cbranch_vccnz .LBB38_9
; %bb.12:                               ;   in Loop: Header=BB38_11 Depth=2
	v_ashrrev_i32_e32 v3, 31, v2
	v_lshlrev_b64 v[13:14], 2, v[2:3]
	s_waitcnt lgkmcnt(0)
	v_mov_b32_e32 v3, s19
	v_add_co_u32_e32 v13, vcc, s18, v13
	v_addc_co_u32_e32 v14, vcc, v3, v14, vcc
	global_load_dword v3, v[13:14], off
	s_mov_b32 s30, 0
	s_mov_b64 s[28:29], 0
	s_mov_b64 s[26:27], 0
                                        ; implicit-def: $sgpr24_sgpr25
	s_waitcnt vmcnt(0)
	v_subrev_u32_e32 v3, s38, v3
	v_mul_lo_u32 v3, v3, s9
.LBB38_13:                              ;   Parent Loop BB38_7 Depth=1
                                        ;     Parent Loop BB38_11 Depth=2
                                        ; =>    This Inner Loop Header: Depth=3
	v_add_u32_e32 v13, s30, v3
	v_sub_u32_e32 v15, 0, v13
	v_ashrrev_i32_e32 v14, 31, v13
	v_max_i32_e32 v13, v13, v15
	v_mul_hi_u32 v15, v13, v10
	v_xor_b32_e32 v14, s39, v14
	s_add_i32 s30, s30, 1
	v_mul_lo_u32 v16, v15, s10
	v_add_u32_e32 v17, 1, v15
	v_sub_u32_e32 v13, v13, v16
	v_cmp_le_u32_e32 vcc, s10, v13
	v_subrev_u32_e32 v16, s10, v13
	v_cndmask_b32_e32 v15, v15, v17, vcc
	v_cndmask_b32_e32 v13, v13, v16, vcc
	v_add_u32_e32 v16, 1, v15
	v_cmp_le_u32_e32 vcc, s10, v13
	v_cndmask_b32_e32 v13, v15, v16, vcc
	v_xor_b32_e32 v13, v13, v14
	v_sub_u32_e32 v13, v13, v14
	v_cmp_ge_i32_e32 vcc, v13, v4
	s_or_b64 s[28:29], vcc, s[28:29]
	s_cmp_ge_i32 s30, s9
	s_cselect_b64 s[34:35], -1, 0
	s_or_b64 s[34:35], vcc, s[34:35]
	s_and_b64 s[34:35], exec, s[34:35]
	s_or_b64 s[26:27], s[34:35], s[26:27]
	s_andn2_b64 s[24:25], s[24:25], exec
	s_and_b64 s[34:35], s[28:29], exec
	v_cndmask_b32_e32 v12, v12, v13, vcc
	v_cndmask_b32_e32 v7, v7, v2, vcc
	s_or_b64 s[24:25], s[24:25], s[34:35]
	s_andn2_b64 exec, exec, s[26:27]
	s_cbranch_execnz .LBB38_13
; %bb.14:                               ;   in Loop: Header=BB38_11 Depth=2
	s_or_b64 exec, exec, s[26:27]
	s_branch .LBB38_10
.LBB38_15:                              ;   in Loop: Header=BB38_7 Depth=1
	s_or_b64 exec, exec, s[22:23]
.LBB38_16:                              ;   in Loop: Header=BB38_7 Depth=1
	s_or_b64 exec, exec, s[20:21]
	v_mov_b32_dpp v2, v12 row_shr:1 row_mask:0xf bank_mask:0xf
	v_min_i32_e32 v2, v2, v12
	v_cmp_gt_i32_e32 vcc, s11, v2
	s_and_b64 s[22:23], s[0:1], vcc
	s_and_saveexec_b64 s[20:21], s[22:23]
	s_cbranch_execz .LBB38_18
; %bb.17:                               ;   in Loop: Header=BB38_7 Depth=1
	v_add_u32_e32 v3, v11, v5
	v_ashrrev_i32_e32 v4, 31, v3
	v_lshlrev_b64 v[3:4], 2, v[3:4]
	v_add_u32_e32 v12, 1, v11
	s_waitcnt lgkmcnt(0)
	v_mov_b32_e32 v11, s7
	v_add_co_u32_e32 v3, vcc, s6, v3
	v_addc_co_u32_e32 v4, vcc, v11, v4, vcc
	v_add_u32_e32 v11, s33, v2
	global_store_dword v[3:4], v11, off
	v_mov_b32_e32 v11, v12
.LBB38_18:                              ;   in Loop: Header=BB38_7 Depth=1
	s_or_b64 exec, exec, s[20:21]
	ds_bpermute_b32 v12, v9, v2
	ds_bpermute_b32 v11, v9, v11
	v_cmp_lt_i32_e32 vcc, v7, v6
	s_and_saveexec_b64 s[20:21], vcc
	s_cbranch_execz .LBB38_6
; %bb.19:                               ;   in Loop: Header=BB38_7 Depth=1
	v_add_u32_e32 v2, -1, v5
	s_waitcnt lgkmcnt(0)
	v_add_u32_e32 v2, v2, v11
	v_mad_u64_u32 v[2:3], s[22:23], v2, s12, v[0:1]
	v_add_u32_e32 v3, v8, v7
	v_mad_u64_u32 v[3:4], s[22:23], s8, v3, v[1:2]
	v_mul_lo_u32 v13, v2, s13
	s_mov_b64 s[22:23], 0
	v_mul_lo_u32 v14, s9, v3
	v_mov_b32_e32 v2, v7
	s_branch .LBB38_21
.LBB38_20:                              ;   in Loop: Header=BB38_21 Depth=2
	s_or_b64 exec, exec, s[28:29]
	s_and_b64 s[24:25], exec, s[24:25]
	s_or_b64 s[22:23], s[24:25], s[22:23]
	s_andn2_b64 exec, exec, s[22:23]
	s_cbranch_execz .LBB38_6
.LBB38_21:                              ;   Parent Loop BB38_7 Depth=1
                                        ; =>  This Loop Header: Depth=2
                                        ;       Child Loop BB38_24 Depth 3
	s_mov_b64 s[24:25], -1
	s_and_b64 vcc, exec, s[2:3]
	s_mov_b64 s[26:27], -1
	s_cbranch_vccnz .LBB38_29
; %bb.22:                               ;   in Loop: Header=BB38_21 Depth=2
	v_ashrrev_i32_e32 v3, 31, v2
	v_lshlrev_b64 v[3:4], 2, v[2:3]
	v_mov_b32_e32 v15, s19
	v_add_co_u32_e32 v3, vcc, s18, v3
	v_addc_co_u32_e32 v4, vcc, v15, v4, vcc
	global_load_dword v3, v[3:4], off
	s_mov_b64 s[28:29], 0
	s_mov_b32 s41, s9
                                        ; implicit-def: $sgpr26_sgpr27
	s_waitcnt vmcnt(0)
	v_subrev_u32_e32 v3, s38, v3
	v_mul_lo_u32 v15, v3, s9
	v_mov_b32_e32 v3, v14
	s_branch .LBB38_24
.LBB38_23:                              ;   in Loop: Header=BB38_24 Depth=3
	s_or_b64 exec, exec, s[36:37]
	s_xor_b64 s[34:35], s[34:35], -1
	s_and_b64 s[30:31], exec, s[30:31]
	s_or_b64 s[28:29], s[30:31], s[28:29]
	s_andn2_b64 s[26:27], s[26:27], exec
	s_and_b64 s[30:31], s[34:35], exec
	s_or_b64 s[26:27], s[26:27], s[30:31]
	s_andn2_b64 exec, exec, s[28:29]
	s_cbranch_execz .LBB38_28
.LBB38_24:                              ;   Parent Loop BB38_7 Depth=1
                                        ;     Parent Loop BB38_21 Depth=2
                                        ; =>    This Inner Loop Header: Depth=3
	v_sub_u32_e32 v4, 0, v15
	v_max_i32_e32 v4, v15, v4
	v_mul_hi_u32 v16, v4, v10
	v_ashrrev_i32_e32 v18, 31, v15
	v_xor_b32_e32 v18, s39, v18
	v_mul_lo_u32 v17, v16, s10
	v_add_u32_e32 v19, 1, v16
	v_sub_u32_e32 v4, v4, v17
	v_cmp_le_u32_e32 vcc, s10, v4
	v_subrev_u32_e32 v17, s10, v4
	v_cndmask_b32_e32 v16, v16, v19, vcc
	v_cndmask_b32_e32 v4, v4, v17, vcc
	v_add_u32_e32 v17, 1, v16
	v_cmp_le_u32_e32 vcc, s10, v4
	v_cndmask_b32_e32 v4, v16, v17, vcc
	v_xor_b32_e32 v4, v4, v18
	v_sub_u32_e32 v16, v4, v18
	v_cmp_eq_u32_e32 vcc, v16, v12
	s_and_saveexec_b64 s[30:31], vcc
	s_cbranch_execz .LBB38_26
; %bb.25:                               ;   in Loop: Header=BB38_24 Depth=3
	v_ashrrev_i32_e32 v4, 31, v3
	v_lshlrev_b64 v[17:18], 4, v[3:4]
	v_mov_b32_e32 v4, s17
	v_add_co_u32_e32 v17, vcc, s16, v17
	v_addc_co_u32_e32 v18, vcc, v4, v18, vcc
	global_load_dwordx4 v[17:20], v[17:18], off
	v_mul_lo_u32 v4, v12, s13
	v_sub_u32_e32 v4, v15, v4
	v_add_u32_e32 v21, v4, v13
	v_ashrrev_i32_e32 v22, 31, v21
	v_lshlrev_b64 v[21:22], 4, v[21:22]
	v_mov_b32_e32 v4, s15
	v_add_co_u32_e32 v21, vcc, s14, v21
	v_addc_co_u32_e32 v22, vcc, v4, v22, vcc
	s_waitcnt vmcnt(0)
	global_store_dwordx4 v[21:22], v[17:20], off
.LBB38_26:                              ;   in Loop: Header=BB38_24 Depth=3
	s_or_b64 exec, exec, s[30:31]
	v_cmp_le_i32_e32 vcc, v16, v12
	s_mov_b64 s[30:31], -1
	s_mov_b64 s[34:35], -1
	s_and_saveexec_b64 s[36:37], vcc
	s_cbranch_execz .LBB38_23
; %bb.27:                               ;   in Loop: Header=BB38_24 Depth=3
	s_add_i32 s41, s41, -1
	s_cmp_eq_u32 s41, 0
	s_cselect_b64 s[30:31], -1, 0
	v_add_u32_e32 v15, 1, v15
	v_add_u32_e32 v3, 1, v3
	s_xor_b64 s[34:35], exec, -1
	s_orn2_b64 s[30:31], s[30:31], exec
	s_branch .LBB38_23
.LBB38_28:                              ;   in Loop: Header=BB38_21 Depth=2
	s_or_b64 exec, exec, s[28:29]
.LBB38_29:                              ;   in Loop: Header=BB38_21 Depth=2
	s_and_saveexec_b64 s[28:29], s[26:27]
	s_cbranch_execz .LBB38_20
; %bb.30:                               ;   in Loop: Header=BB38_21 Depth=2
	v_add_u32_e32 v2, 1, v2
	v_cmp_ge_i32_e32 vcc, v2, v6
	v_add_u32_e32 v14, s40, v14
	s_orn2_b64 s[24:25], vcc, exec
	s_branch .LBB38_20
.LBB38_31:
	s_endpgm
	.section	.rodata,"a",@progbits
	.p2align	6, 0x0
	.amdhsa_kernel _ZN9rocsparseL23gebsr2gebsr_fast_kernelIL20rocsparse_direction_0ELi16ELi2E21rocsparse_complex_numIdEEEvii21rocsparse_index_base_PKT2_PKiS9_iiiiS4_PS5_PiSB_ii
		.amdhsa_group_segment_fixed_size 0
		.amdhsa_private_segment_fixed_size 0
		.amdhsa_kernarg_size 96
		.amdhsa_user_sgpr_count 6
		.amdhsa_user_sgpr_private_segment_buffer 1
		.amdhsa_user_sgpr_dispatch_ptr 0
		.amdhsa_user_sgpr_queue_ptr 0
		.amdhsa_user_sgpr_kernarg_segment_ptr 1
		.amdhsa_user_sgpr_dispatch_id 0
		.amdhsa_user_sgpr_flat_scratch_init 0
		.amdhsa_user_sgpr_private_segment_size 0
		.amdhsa_uses_dynamic_stack 0
		.amdhsa_system_sgpr_private_segment_wavefront_offset 0
		.amdhsa_system_sgpr_workgroup_id_x 1
		.amdhsa_system_sgpr_workgroup_id_y 0
		.amdhsa_system_sgpr_workgroup_id_z 0
		.amdhsa_system_sgpr_workgroup_info 0
		.amdhsa_system_vgpr_workitem_id 0
		.amdhsa_next_free_vgpr 23
		.amdhsa_next_free_sgpr 42
		.amdhsa_reserve_vcc 1
		.amdhsa_reserve_flat_scratch 0
		.amdhsa_float_round_mode_32 0
		.amdhsa_float_round_mode_16_64 0
		.amdhsa_float_denorm_mode_32 3
		.amdhsa_float_denorm_mode_16_64 3
		.amdhsa_dx10_clamp 1
		.amdhsa_ieee_mode 1
		.amdhsa_fp16_overflow 0
		.amdhsa_exception_fp_ieee_invalid_op 0
		.amdhsa_exception_fp_denorm_src 0
		.amdhsa_exception_fp_ieee_div_zero 0
		.amdhsa_exception_fp_ieee_overflow 0
		.amdhsa_exception_fp_ieee_underflow 0
		.amdhsa_exception_fp_ieee_inexact 0
		.amdhsa_exception_int_div_zero 0
	.end_amdhsa_kernel
	.section	.text._ZN9rocsparseL23gebsr2gebsr_fast_kernelIL20rocsparse_direction_0ELi16ELi2E21rocsparse_complex_numIdEEEvii21rocsparse_index_base_PKT2_PKiS9_iiiiS4_PS5_PiSB_ii,"axG",@progbits,_ZN9rocsparseL23gebsr2gebsr_fast_kernelIL20rocsparse_direction_0ELi16ELi2E21rocsparse_complex_numIdEEEvii21rocsparse_index_base_PKT2_PKiS9_iiiiS4_PS5_PiSB_ii,comdat
.Lfunc_end38:
	.size	_ZN9rocsparseL23gebsr2gebsr_fast_kernelIL20rocsparse_direction_0ELi16ELi2E21rocsparse_complex_numIdEEEvii21rocsparse_index_base_PKT2_PKiS9_iiiiS4_PS5_PiSB_ii, .Lfunc_end38-_ZN9rocsparseL23gebsr2gebsr_fast_kernelIL20rocsparse_direction_0ELi16ELi2E21rocsparse_complex_numIdEEEvii21rocsparse_index_base_PKT2_PKiS9_iiiiS4_PS5_PiSB_ii
                                        ; -- End function
	.set _ZN9rocsparseL23gebsr2gebsr_fast_kernelIL20rocsparse_direction_0ELi16ELi2E21rocsparse_complex_numIdEEEvii21rocsparse_index_base_PKT2_PKiS9_iiiiS4_PS5_PiSB_ii.num_vgpr, 23
	.set _ZN9rocsparseL23gebsr2gebsr_fast_kernelIL20rocsparse_direction_0ELi16ELi2E21rocsparse_complex_numIdEEEvii21rocsparse_index_base_PKT2_PKiS9_iiiiS4_PS5_PiSB_ii.num_agpr, 0
	.set _ZN9rocsparseL23gebsr2gebsr_fast_kernelIL20rocsparse_direction_0ELi16ELi2E21rocsparse_complex_numIdEEEvii21rocsparse_index_base_PKT2_PKiS9_iiiiS4_PS5_PiSB_ii.numbered_sgpr, 42
	.set _ZN9rocsparseL23gebsr2gebsr_fast_kernelIL20rocsparse_direction_0ELi16ELi2E21rocsparse_complex_numIdEEEvii21rocsparse_index_base_PKT2_PKiS9_iiiiS4_PS5_PiSB_ii.num_named_barrier, 0
	.set _ZN9rocsparseL23gebsr2gebsr_fast_kernelIL20rocsparse_direction_0ELi16ELi2E21rocsparse_complex_numIdEEEvii21rocsparse_index_base_PKT2_PKiS9_iiiiS4_PS5_PiSB_ii.private_seg_size, 0
	.set _ZN9rocsparseL23gebsr2gebsr_fast_kernelIL20rocsparse_direction_0ELi16ELi2E21rocsparse_complex_numIdEEEvii21rocsparse_index_base_PKT2_PKiS9_iiiiS4_PS5_PiSB_ii.uses_vcc, 1
	.set _ZN9rocsparseL23gebsr2gebsr_fast_kernelIL20rocsparse_direction_0ELi16ELi2E21rocsparse_complex_numIdEEEvii21rocsparse_index_base_PKT2_PKiS9_iiiiS4_PS5_PiSB_ii.uses_flat_scratch, 0
	.set _ZN9rocsparseL23gebsr2gebsr_fast_kernelIL20rocsparse_direction_0ELi16ELi2E21rocsparse_complex_numIdEEEvii21rocsparse_index_base_PKT2_PKiS9_iiiiS4_PS5_PiSB_ii.has_dyn_sized_stack, 0
	.set _ZN9rocsparseL23gebsr2gebsr_fast_kernelIL20rocsparse_direction_0ELi16ELi2E21rocsparse_complex_numIdEEEvii21rocsparse_index_base_PKT2_PKiS9_iiiiS4_PS5_PiSB_ii.has_recursion, 0
	.set _ZN9rocsparseL23gebsr2gebsr_fast_kernelIL20rocsparse_direction_0ELi16ELi2E21rocsparse_complex_numIdEEEvii21rocsparse_index_base_PKT2_PKiS9_iiiiS4_PS5_PiSB_ii.has_indirect_call, 0
	.section	.AMDGPU.csdata,"",@progbits
; Kernel info:
; codeLenInByte = 1488
; TotalNumSgprs: 46
; NumVgprs: 23
; ScratchSize: 0
; MemoryBound: 0
; FloatMode: 240
; IeeeMode: 1
; LDSByteSize: 0 bytes/workgroup (compile time only)
; SGPRBlocks: 5
; VGPRBlocks: 5
; NumSGPRsForWavesPerEU: 46
; NumVGPRsForWavesPerEU: 23
; Occupancy: 10
; WaveLimiterHint : 0
; COMPUTE_PGM_RSRC2:SCRATCH_EN: 0
; COMPUTE_PGM_RSRC2:USER_SGPR: 6
; COMPUTE_PGM_RSRC2:TRAP_HANDLER: 0
; COMPUTE_PGM_RSRC2:TGID_X_EN: 1
; COMPUTE_PGM_RSRC2:TGID_Y_EN: 0
; COMPUTE_PGM_RSRC2:TGID_Z_EN: 0
; COMPUTE_PGM_RSRC2:TIDIG_COMP_CNT: 0
	.section	.text._ZN9rocsparseL23gebsr2gebsr_fast_kernelIL20rocsparse_direction_0ELi16ELi4E21rocsparse_complex_numIdEEEvii21rocsparse_index_base_PKT2_PKiS9_iiiiS4_PS5_PiSB_ii,"axG",@progbits,_ZN9rocsparseL23gebsr2gebsr_fast_kernelIL20rocsparse_direction_0ELi16ELi4E21rocsparse_complex_numIdEEEvii21rocsparse_index_base_PKT2_PKiS9_iiiiS4_PS5_PiSB_ii,comdat
	.globl	_ZN9rocsparseL23gebsr2gebsr_fast_kernelIL20rocsparse_direction_0ELi16ELi4E21rocsparse_complex_numIdEEEvii21rocsparse_index_base_PKT2_PKiS9_iiiiS4_PS5_PiSB_ii ; -- Begin function _ZN9rocsparseL23gebsr2gebsr_fast_kernelIL20rocsparse_direction_0ELi16ELi4E21rocsparse_complex_numIdEEEvii21rocsparse_index_base_PKT2_PKiS9_iiiiS4_PS5_PiSB_ii
	.p2align	8
	.type	_ZN9rocsparseL23gebsr2gebsr_fast_kernelIL20rocsparse_direction_0ELi16ELi4E21rocsparse_complex_numIdEEEvii21rocsparse_index_base_PKT2_PKiS9_iiiiS4_PS5_PiSB_ii,@function
_ZN9rocsparseL23gebsr2gebsr_fast_kernelIL20rocsparse_direction_0ELi16ELi4E21rocsparse_complex_numIdEEEvii21rocsparse_index_base_PKT2_PKiS9_iiiiS4_PS5_PiSB_ii: ; @_ZN9rocsparseL23gebsr2gebsr_fast_kernelIL20rocsparse_direction_0ELi16ELi4E21rocsparse_complex_numIdEEEvii21rocsparse_index_base_PKT2_PKiS9_iiiiS4_PS5_PiSB_ii
; %bb.0:
	s_load_dwordx4 s[8:11], s[4:5], 0x28
	s_load_dword s33, s[4:5], 0x38
	s_load_dwordx2 s[12:13], s[4:5], 0x58
	v_lshrrev_b32_e32 v4, 2, v0
	s_lshl_b32 s2, s6, 2
	s_waitcnt lgkmcnt(0)
	s_abs_i32 s3, s8
	v_cvt_f32_u32_e32 v1, s3
	s_sub_i32 s0, 0, s3
	v_and_b32_e32 v0, 3, v0
	s_load_dword s6, s[4:5], 0x0
	s_load_dword s38, s[4:5], 0x8
	v_rcp_iflag_f32_e32 v1, v1
	v_cmp_gt_i32_e32 vcc, s12, v0
	v_mul_f32_e32 v1, 0x4f7ffffe, v1
	v_cvt_u32_f32_e32 v5, v1
	v_or_b32_e32 v1, s2, v4
	v_mul_lo_u32 v6, s0, v5
	v_mad_u64_u32 v[2:3], s[0:1], v1, s12, v[0:1]
	v_mul_hi_u32 v3, v5, v6
	v_sub_u32_e32 v6, 0, v2
	v_max_i32_e32 v7, v2, v6
	v_xor_b32_e32 v2, s8, v2
	v_add_u32_e32 v3, v5, v3
	v_mul_hi_u32 v3, v7, v3
	v_ashrrev_i32_e32 v8, 31, v2
	v_mov_b32_e32 v5, 0
	v_mov_b32_e32 v6, 0
	v_mul_lo_u32 v9, v3, s3
	v_add_u32_e32 v2, 1, v3
	v_sub_u32_e32 v7, v7, v9
	v_cmp_le_u32_e64 s[0:1], s3, v7
	v_cndmask_b32_e64 v2, v3, v2, s[0:1]
	v_subrev_u32_e32 v3, s3, v7
	v_cndmask_b32_e64 v3, v7, v3, s[0:1]
	v_add_u32_e32 v7, 1, v2
	v_cmp_le_u32_e64 s[0:1], s3, v3
	v_cndmask_b32_e64 v2, v2, v7, s[0:1]
	v_xor_b32_e32 v9, v2, v8
	v_sub_u32_e32 v2, v9, v8
	s_waitcnt lgkmcnt(0)
	v_cmp_gt_i32_e64 s[0:1], s6, v2
	s_and_b64 s[6:7], vcc, s[0:1]
	v_mov_b32_e32 v7, 0
	s_and_saveexec_b64 s[0:1], s[6:7]
	s_cbranch_execnz .LBB39_3
; %bb.1:
	s_or_b64 exec, exec, s[0:1]
	v_cmp_gt_i32_e32 vcc, s10, v1
	s_and_saveexec_b64 s[0:1], vcc
	s_cbranch_execnz .LBB39_4
.LBB39_2:
	s_or_b64 exec, exec, s[0:1]
	s_cmp_lt_i32 s11, 1
	s_cbranch_scc0 .LBB39_5
	s_branch .LBB39_31
.LBB39_3:
	s_load_dwordx2 s[6:7], s[4:5], 0x18
	v_ashrrev_i32_e32 v3, 31, v2
	v_lshlrev_b64 v[2:3], 2, v[2:3]
	s_waitcnt lgkmcnt(0)
	v_mov_b32_e32 v6, s7
	v_add_co_u32_e32 v2, vcc, s6, v2
	v_addc_co_u32_e32 v3, vcc, v6, v3, vcc
	global_load_dwordx2 v[2:3], v[2:3], off
	s_waitcnt vmcnt(0)
	v_subrev_u32_e32 v7, s38, v2
	v_subrev_u32_e32 v6, s38, v3
	s_or_b64 exec, exec, s[0:1]
	v_cmp_gt_i32_e32 vcc, s10, v1
	s_and_saveexec_b64 s[0:1], vcc
	s_cbranch_execz .LBB39_2
.LBB39_4:
	s_load_dwordx2 s[6:7], s[4:5], 0x48
	v_ashrrev_i32_e32 v2, 31, v1
	v_lshlrev_b64 v[1:2], 2, v[1:2]
	s_waitcnt lgkmcnt(0)
	v_mov_b32_e32 v3, s7
	v_add_co_u32_e32 v1, vcc, s6, v1
	v_addc_co_u32_e32 v2, vcc, v3, v2, vcc
	global_load_dword v1, v[1:2], off
	s_waitcnt vmcnt(0)
	v_subrev_u32_e32 v5, s33, v1
	s_or_b64 exec, exec, s[0:1]
	s_cmp_lt_i32 s11, 1
	s_cbranch_scc1 .LBB39_31
.LBB39_5:
	s_cmp_gt_i32 s9, 0
	s_cselect_b64 s[20:21], -1, 0
	s_abs_i32 s10, s13
	v_cvt_f32_u32_e32 v1, s10
	v_add_u32_e32 v2, s2, v4
	s_sub_i32 s2, 0, s10
	s_load_dwordx2 s[6:7], s[4:5], 0x50
	s_load_dwordx2 s[14:15], s[4:5], 0x40
	s_load_dwordx2 s[16:17], s[4:5], 0x10
	s_load_dwordx2 s[18:19], s[4:5], 0x20
	v_rcp_iflag_f32_e32 v1, v1
	v_sub_u32_e32 v8, v8, v9
	v_cmp_eq_u32_e64 s[0:1], 3, v0
	s_ashr_i32 s39, s13, 31
	v_mul_f32_e32 v1, 0x4f7ffffe, v1
	v_cvt_u32_f32_e32 v3, v1
	v_mbcnt_lo_u32_b32 v1, -1, 0
	v_mbcnt_hi_u32_b32 v9, -1, v1
	v_lshl_or_b32 v9, v9, 2, 12
	v_mul_lo_u32 v4, s2, v3
	v_mad_u64_u32 v[1:2], s[2:3], s12, v2, v[0:1]
	v_cndmask_b32_e64 v2, 0, 1, s[20:21]
	v_mul_hi_u32 v4, v3, v4
	s_mul_i32 s40, s9, s8
	s_mov_b64 s[4:5], 0
	v_cmp_ne_u32_e64 s[2:3], 1, v2
	v_add_u32_e32 v10, v3, v4
	v_mov_b32_e32 v4, 0
	v_mov_b32_e32 v11, 0
	s_branch .LBB39_7
.LBB39_6:                               ;   in Loop: Header=BB39_7 Depth=1
	s_or_b64 exec, exec, s[20:21]
	s_waitcnt lgkmcnt(0)
	v_add_u32_e32 v4, 1, v12
	v_cmp_le_i32_e32 vcc, s11, v4
	s_or_b64 s[4:5], vcc, s[4:5]
	s_andn2_b64 exec, exec, s[4:5]
	s_cbranch_execz .LBB39_31
.LBB39_7:                               ; =>This Loop Header: Depth=1
                                        ;     Child Loop BB39_11 Depth 2
                                        ;       Child Loop BB39_13 Depth 3
                                        ;     Child Loop BB39_21 Depth 2
                                        ;       Child Loop BB39_24 Depth 3
	v_cmp_lt_i32_e32 vcc, v7, v6
	v_mov_b32_e32 v12, s11
	s_and_saveexec_b64 s[20:21], vcc
	s_cbranch_execz .LBB39_16
; %bb.8:                                ;   in Loop: Header=BB39_7 Depth=1
	s_mov_b64 s[22:23], 0
	v_mov_b32_e32 v12, s11
	v_mov_b32_e32 v2, v7
	s_branch .LBB39_11
.LBB39_9:                               ;   in Loop: Header=BB39_11 Depth=2
	s_mov_b64 s[24:25], 0
.LBB39_10:                              ;   in Loop: Header=BB39_11 Depth=2
	v_add_u32_e32 v2, 1, v2
	v_cmp_ge_i32_e32 vcc, v2, v6
	s_or_b64 s[24:25], s[24:25], vcc
	s_and_b64 s[24:25], exec, s[24:25]
	s_or_b64 s[22:23], s[24:25], s[22:23]
	s_andn2_b64 exec, exec, s[22:23]
	s_cbranch_execz .LBB39_15
.LBB39_11:                              ;   Parent Loop BB39_7 Depth=1
                                        ; =>  This Loop Header: Depth=2
                                        ;       Child Loop BB39_13 Depth 3
	s_and_b64 vcc, exec, s[2:3]
	s_cbranch_vccnz .LBB39_9
; %bb.12:                               ;   in Loop: Header=BB39_11 Depth=2
	v_ashrrev_i32_e32 v3, 31, v2
	v_lshlrev_b64 v[13:14], 2, v[2:3]
	s_waitcnt lgkmcnt(0)
	v_mov_b32_e32 v3, s19
	v_add_co_u32_e32 v13, vcc, s18, v13
	v_addc_co_u32_e32 v14, vcc, v3, v14, vcc
	global_load_dword v3, v[13:14], off
	s_mov_b32 s30, 0
	s_mov_b64 s[28:29], 0
	s_mov_b64 s[26:27], 0
                                        ; implicit-def: $sgpr24_sgpr25
	s_waitcnt vmcnt(0)
	v_subrev_u32_e32 v3, s38, v3
	v_mul_lo_u32 v3, v3, s9
.LBB39_13:                              ;   Parent Loop BB39_7 Depth=1
                                        ;     Parent Loop BB39_11 Depth=2
                                        ; =>    This Inner Loop Header: Depth=3
	v_add_u32_e32 v13, s30, v3
	v_sub_u32_e32 v15, 0, v13
	v_ashrrev_i32_e32 v14, 31, v13
	v_max_i32_e32 v13, v13, v15
	v_mul_hi_u32 v15, v13, v10
	v_xor_b32_e32 v14, s39, v14
	s_add_i32 s30, s30, 1
	v_mul_lo_u32 v16, v15, s10
	v_add_u32_e32 v17, 1, v15
	v_sub_u32_e32 v13, v13, v16
	v_cmp_le_u32_e32 vcc, s10, v13
	v_subrev_u32_e32 v16, s10, v13
	v_cndmask_b32_e32 v15, v15, v17, vcc
	v_cndmask_b32_e32 v13, v13, v16, vcc
	v_add_u32_e32 v16, 1, v15
	v_cmp_le_u32_e32 vcc, s10, v13
	v_cndmask_b32_e32 v13, v15, v16, vcc
	v_xor_b32_e32 v13, v13, v14
	v_sub_u32_e32 v13, v13, v14
	v_cmp_ge_i32_e32 vcc, v13, v4
	s_or_b64 s[28:29], vcc, s[28:29]
	s_cmp_ge_i32 s30, s9
	s_cselect_b64 s[34:35], -1, 0
	s_or_b64 s[34:35], vcc, s[34:35]
	s_and_b64 s[34:35], exec, s[34:35]
	s_or_b64 s[26:27], s[34:35], s[26:27]
	s_andn2_b64 s[24:25], s[24:25], exec
	s_and_b64 s[34:35], s[28:29], exec
	v_cndmask_b32_e32 v12, v12, v13, vcc
	v_cndmask_b32_e32 v7, v7, v2, vcc
	s_or_b64 s[24:25], s[24:25], s[34:35]
	s_andn2_b64 exec, exec, s[26:27]
	s_cbranch_execnz .LBB39_13
; %bb.14:                               ;   in Loop: Header=BB39_11 Depth=2
	s_or_b64 exec, exec, s[26:27]
	s_branch .LBB39_10
.LBB39_15:                              ;   in Loop: Header=BB39_7 Depth=1
	s_or_b64 exec, exec, s[22:23]
.LBB39_16:                              ;   in Loop: Header=BB39_7 Depth=1
	s_or_b64 exec, exec, s[20:21]
	v_mov_b32_dpp v2, v12 row_shr:1 row_mask:0xf bank_mask:0xf
	v_min_i32_e32 v2, v2, v12
	s_nop 1
	v_mov_b32_dpp v3, v2 row_shr:2 row_mask:0xf bank_mask:0xf
	v_min_i32_e32 v2, v3, v2
	v_cmp_gt_i32_e32 vcc, s11, v2
	s_and_b64 s[22:23], s[0:1], vcc
	s_and_saveexec_b64 s[20:21], s[22:23]
	s_cbranch_execz .LBB39_18
; %bb.17:                               ;   in Loop: Header=BB39_7 Depth=1
	v_add_u32_e32 v3, v11, v5
	v_ashrrev_i32_e32 v4, 31, v3
	v_lshlrev_b64 v[3:4], 2, v[3:4]
	v_add_u32_e32 v12, 1, v11
	s_waitcnt lgkmcnt(0)
	v_mov_b32_e32 v11, s7
	v_add_co_u32_e32 v3, vcc, s6, v3
	v_addc_co_u32_e32 v4, vcc, v11, v4, vcc
	v_add_u32_e32 v11, s33, v2
	global_store_dword v[3:4], v11, off
	v_mov_b32_e32 v11, v12
.LBB39_18:                              ;   in Loop: Header=BB39_7 Depth=1
	s_or_b64 exec, exec, s[20:21]
	ds_bpermute_b32 v12, v9, v2
	ds_bpermute_b32 v11, v9, v11
	v_cmp_lt_i32_e32 vcc, v7, v6
	s_and_saveexec_b64 s[20:21], vcc
	s_cbranch_execz .LBB39_6
; %bb.19:                               ;   in Loop: Header=BB39_7 Depth=1
	v_add_u32_e32 v2, -1, v5
	s_waitcnt lgkmcnt(0)
	v_add_u32_e32 v2, v2, v11
	v_mad_u64_u32 v[2:3], s[22:23], v2, s12, v[0:1]
	v_add_u32_e32 v3, v8, v7
	v_mad_u64_u32 v[3:4], s[22:23], s8, v3, v[1:2]
	v_mul_lo_u32 v13, v2, s13
	s_mov_b64 s[22:23], 0
	v_mul_lo_u32 v14, s9, v3
	v_mov_b32_e32 v2, v7
	s_branch .LBB39_21
.LBB39_20:                              ;   in Loop: Header=BB39_21 Depth=2
	s_or_b64 exec, exec, s[28:29]
	s_and_b64 s[24:25], exec, s[24:25]
	s_or_b64 s[22:23], s[24:25], s[22:23]
	s_andn2_b64 exec, exec, s[22:23]
	s_cbranch_execz .LBB39_6
.LBB39_21:                              ;   Parent Loop BB39_7 Depth=1
                                        ; =>  This Loop Header: Depth=2
                                        ;       Child Loop BB39_24 Depth 3
	s_mov_b64 s[24:25], -1
	s_and_b64 vcc, exec, s[2:3]
	s_mov_b64 s[26:27], -1
	s_cbranch_vccnz .LBB39_29
; %bb.22:                               ;   in Loop: Header=BB39_21 Depth=2
	v_ashrrev_i32_e32 v3, 31, v2
	v_lshlrev_b64 v[3:4], 2, v[2:3]
	v_mov_b32_e32 v15, s19
	v_add_co_u32_e32 v3, vcc, s18, v3
	v_addc_co_u32_e32 v4, vcc, v15, v4, vcc
	global_load_dword v3, v[3:4], off
	s_mov_b64 s[28:29], 0
	s_mov_b32 s41, s9
                                        ; implicit-def: $sgpr26_sgpr27
	s_waitcnt vmcnt(0)
	v_subrev_u32_e32 v3, s38, v3
	v_mul_lo_u32 v15, v3, s9
	v_mov_b32_e32 v3, v14
	s_branch .LBB39_24
.LBB39_23:                              ;   in Loop: Header=BB39_24 Depth=3
	s_or_b64 exec, exec, s[36:37]
	s_xor_b64 s[34:35], s[34:35], -1
	s_and_b64 s[30:31], exec, s[30:31]
	s_or_b64 s[28:29], s[30:31], s[28:29]
	s_andn2_b64 s[26:27], s[26:27], exec
	s_and_b64 s[30:31], s[34:35], exec
	s_or_b64 s[26:27], s[26:27], s[30:31]
	s_andn2_b64 exec, exec, s[28:29]
	s_cbranch_execz .LBB39_28
.LBB39_24:                              ;   Parent Loop BB39_7 Depth=1
                                        ;     Parent Loop BB39_21 Depth=2
                                        ; =>    This Inner Loop Header: Depth=3
	v_sub_u32_e32 v4, 0, v15
	v_max_i32_e32 v4, v15, v4
	v_mul_hi_u32 v16, v4, v10
	v_ashrrev_i32_e32 v18, 31, v15
	v_xor_b32_e32 v18, s39, v18
	v_mul_lo_u32 v17, v16, s10
	v_add_u32_e32 v19, 1, v16
	v_sub_u32_e32 v4, v4, v17
	v_cmp_le_u32_e32 vcc, s10, v4
	v_subrev_u32_e32 v17, s10, v4
	v_cndmask_b32_e32 v16, v16, v19, vcc
	v_cndmask_b32_e32 v4, v4, v17, vcc
	v_add_u32_e32 v17, 1, v16
	v_cmp_le_u32_e32 vcc, s10, v4
	v_cndmask_b32_e32 v4, v16, v17, vcc
	v_xor_b32_e32 v4, v4, v18
	v_sub_u32_e32 v16, v4, v18
	v_cmp_eq_u32_e32 vcc, v16, v12
	s_and_saveexec_b64 s[30:31], vcc
	s_cbranch_execz .LBB39_26
; %bb.25:                               ;   in Loop: Header=BB39_24 Depth=3
	v_ashrrev_i32_e32 v4, 31, v3
	v_lshlrev_b64 v[17:18], 4, v[3:4]
	v_mov_b32_e32 v4, s17
	v_add_co_u32_e32 v17, vcc, s16, v17
	v_addc_co_u32_e32 v18, vcc, v4, v18, vcc
	global_load_dwordx4 v[17:20], v[17:18], off
	v_mul_lo_u32 v4, v12, s13
	v_sub_u32_e32 v4, v15, v4
	v_add_u32_e32 v21, v4, v13
	v_ashrrev_i32_e32 v22, 31, v21
	v_lshlrev_b64 v[21:22], 4, v[21:22]
	v_mov_b32_e32 v4, s15
	v_add_co_u32_e32 v21, vcc, s14, v21
	v_addc_co_u32_e32 v22, vcc, v4, v22, vcc
	s_waitcnt vmcnt(0)
	global_store_dwordx4 v[21:22], v[17:20], off
.LBB39_26:                              ;   in Loop: Header=BB39_24 Depth=3
	s_or_b64 exec, exec, s[30:31]
	v_cmp_le_i32_e32 vcc, v16, v12
	s_mov_b64 s[30:31], -1
	s_mov_b64 s[34:35], -1
	s_and_saveexec_b64 s[36:37], vcc
	s_cbranch_execz .LBB39_23
; %bb.27:                               ;   in Loop: Header=BB39_24 Depth=3
	s_add_i32 s41, s41, -1
	s_cmp_eq_u32 s41, 0
	s_cselect_b64 s[30:31], -1, 0
	v_add_u32_e32 v15, 1, v15
	v_add_u32_e32 v3, 1, v3
	s_xor_b64 s[34:35], exec, -1
	s_orn2_b64 s[30:31], s[30:31], exec
	s_branch .LBB39_23
.LBB39_28:                              ;   in Loop: Header=BB39_21 Depth=2
	s_or_b64 exec, exec, s[28:29]
.LBB39_29:                              ;   in Loop: Header=BB39_21 Depth=2
	s_and_saveexec_b64 s[28:29], s[26:27]
	s_cbranch_execz .LBB39_20
; %bb.30:                               ;   in Loop: Header=BB39_21 Depth=2
	v_add_u32_e32 v2, 1, v2
	v_cmp_ge_i32_e32 vcc, v2, v6
	v_add_u32_e32 v14, s40, v14
	s_orn2_b64 s[24:25], vcc, exec
	s_branch .LBB39_20
.LBB39_31:
	s_endpgm
	.section	.rodata,"a",@progbits
	.p2align	6, 0x0
	.amdhsa_kernel _ZN9rocsparseL23gebsr2gebsr_fast_kernelIL20rocsparse_direction_0ELi16ELi4E21rocsparse_complex_numIdEEEvii21rocsparse_index_base_PKT2_PKiS9_iiiiS4_PS5_PiSB_ii
		.amdhsa_group_segment_fixed_size 0
		.amdhsa_private_segment_fixed_size 0
		.amdhsa_kernarg_size 96
		.amdhsa_user_sgpr_count 6
		.amdhsa_user_sgpr_private_segment_buffer 1
		.amdhsa_user_sgpr_dispatch_ptr 0
		.amdhsa_user_sgpr_queue_ptr 0
		.amdhsa_user_sgpr_kernarg_segment_ptr 1
		.amdhsa_user_sgpr_dispatch_id 0
		.amdhsa_user_sgpr_flat_scratch_init 0
		.amdhsa_user_sgpr_private_segment_size 0
		.amdhsa_uses_dynamic_stack 0
		.amdhsa_system_sgpr_private_segment_wavefront_offset 0
		.amdhsa_system_sgpr_workgroup_id_x 1
		.amdhsa_system_sgpr_workgroup_id_y 0
		.amdhsa_system_sgpr_workgroup_id_z 0
		.amdhsa_system_sgpr_workgroup_info 0
		.amdhsa_system_vgpr_workitem_id 0
		.amdhsa_next_free_vgpr 23
		.amdhsa_next_free_sgpr 42
		.amdhsa_reserve_vcc 1
		.amdhsa_reserve_flat_scratch 0
		.amdhsa_float_round_mode_32 0
		.amdhsa_float_round_mode_16_64 0
		.amdhsa_float_denorm_mode_32 3
		.amdhsa_float_denorm_mode_16_64 3
		.amdhsa_dx10_clamp 1
		.amdhsa_ieee_mode 1
		.amdhsa_fp16_overflow 0
		.amdhsa_exception_fp_ieee_invalid_op 0
		.amdhsa_exception_fp_denorm_src 0
		.amdhsa_exception_fp_ieee_div_zero 0
		.amdhsa_exception_fp_ieee_overflow 0
		.amdhsa_exception_fp_ieee_underflow 0
		.amdhsa_exception_fp_ieee_inexact 0
		.amdhsa_exception_int_div_zero 0
	.end_amdhsa_kernel
	.section	.text._ZN9rocsparseL23gebsr2gebsr_fast_kernelIL20rocsparse_direction_0ELi16ELi4E21rocsparse_complex_numIdEEEvii21rocsparse_index_base_PKT2_PKiS9_iiiiS4_PS5_PiSB_ii,"axG",@progbits,_ZN9rocsparseL23gebsr2gebsr_fast_kernelIL20rocsparse_direction_0ELi16ELi4E21rocsparse_complex_numIdEEEvii21rocsparse_index_base_PKT2_PKiS9_iiiiS4_PS5_PiSB_ii,comdat
.Lfunc_end39:
	.size	_ZN9rocsparseL23gebsr2gebsr_fast_kernelIL20rocsparse_direction_0ELi16ELi4E21rocsparse_complex_numIdEEEvii21rocsparse_index_base_PKT2_PKiS9_iiiiS4_PS5_PiSB_ii, .Lfunc_end39-_ZN9rocsparseL23gebsr2gebsr_fast_kernelIL20rocsparse_direction_0ELi16ELi4E21rocsparse_complex_numIdEEEvii21rocsparse_index_base_PKT2_PKiS9_iiiiS4_PS5_PiSB_ii
                                        ; -- End function
	.set _ZN9rocsparseL23gebsr2gebsr_fast_kernelIL20rocsparse_direction_0ELi16ELi4E21rocsparse_complex_numIdEEEvii21rocsparse_index_base_PKT2_PKiS9_iiiiS4_PS5_PiSB_ii.num_vgpr, 23
	.set _ZN9rocsparseL23gebsr2gebsr_fast_kernelIL20rocsparse_direction_0ELi16ELi4E21rocsparse_complex_numIdEEEvii21rocsparse_index_base_PKT2_PKiS9_iiiiS4_PS5_PiSB_ii.num_agpr, 0
	.set _ZN9rocsparseL23gebsr2gebsr_fast_kernelIL20rocsparse_direction_0ELi16ELi4E21rocsparse_complex_numIdEEEvii21rocsparse_index_base_PKT2_PKiS9_iiiiS4_PS5_PiSB_ii.numbered_sgpr, 42
	.set _ZN9rocsparseL23gebsr2gebsr_fast_kernelIL20rocsparse_direction_0ELi16ELi4E21rocsparse_complex_numIdEEEvii21rocsparse_index_base_PKT2_PKiS9_iiiiS4_PS5_PiSB_ii.num_named_barrier, 0
	.set _ZN9rocsparseL23gebsr2gebsr_fast_kernelIL20rocsparse_direction_0ELi16ELi4E21rocsparse_complex_numIdEEEvii21rocsparse_index_base_PKT2_PKiS9_iiiiS4_PS5_PiSB_ii.private_seg_size, 0
	.set _ZN9rocsparseL23gebsr2gebsr_fast_kernelIL20rocsparse_direction_0ELi16ELi4E21rocsparse_complex_numIdEEEvii21rocsparse_index_base_PKT2_PKiS9_iiiiS4_PS5_PiSB_ii.uses_vcc, 1
	.set _ZN9rocsparseL23gebsr2gebsr_fast_kernelIL20rocsparse_direction_0ELi16ELi4E21rocsparse_complex_numIdEEEvii21rocsparse_index_base_PKT2_PKiS9_iiiiS4_PS5_PiSB_ii.uses_flat_scratch, 0
	.set _ZN9rocsparseL23gebsr2gebsr_fast_kernelIL20rocsparse_direction_0ELi16ELi4E21rocsparse_complex_numIdEEEvii21rocsparse_index_base_PKT2_PKiS9_iiiiS4_PS5_PiSB_ii.has_dyn_sized_stack, 0
	.set _ZN9rocsparseL23gebsr2gebsr_fast_kernelIL20rocsparse_direction_0ELi16ELi4E21rocsparse_complex_numIdEEEvii21rocsparse_index_base_PKT2_PKiS9_iiiiS4_PS5_PiSB_ii.has_recursion, 0
	.set _ZN9rocsparseL23gebsr2gebsr_fast_kernelIL20rocsparse_direction_0ELi16ELi4E21rocsparse_complex_numIdEEEvii21rocsparse_index_base_PKT2_PKiS9_iiiiS4_PS5_PiSB_ii.has_indirect_call, 0
	.section	.AMDGPU.csdata,"",@progbits
; Kernel info:
; codeLenInByte = 1504
; TotalNumSgprs: 46
; NumVgprs: 23
; ScratchSize: 0
; MemoryBound: 0
; FloatMode: 240
; IeeeMode: 1
; LDSByteSize: 0 bytes/workgroup (compile time only)
; SGPRBlocks: 5
; VGPRBlocks: 5
; NumSGPRsForWavesPerEU: 46
; NumVGPRsForWavesPerEU: 23
; Occupancy: 10
; WaveLimiterHint : 0
; COMPUTE_PGM_RSRC2:SCRATCH_EN: 0
; COMPUTE_PGM_RSRC2:USER_SGPR: 6
; COMPUTE_PGM_RSRC2:TRAP_HANDLER: 0
; COMPUTE_PGM_RSRC2:TGID_X_EN: 1
; COMPUTE_PGM_RSRC2:TGID_Y_EN: 0
; COMPUTE_PGM_RSRC2:TGID_Z_EN: 0
; COMPUTE_PGM_RSRC2:TIDIG_COMP_CNT: 0
	.section	.text._ZN9rocsparseL23gebsr2gebsr_fast_kernelIL20rocsparse_direction_0ELi16ELi8E21rocsparse_complex_numIdEEEvii21rocsparse_index_base_PKT2_PKiS9_iiiiS4_PS5_PiSB_ii,"axG",@progbits,_ZN9rocsparseL23gebsr2gebsr_fast_kernelIL20rocsparse_direction_0ELi16ELi8E21rocsparse_complex_numIdEEEvii21rocsparse_index_base_PKT2_PKiS9_iiiiS4_PS5_PiSB_ii,comdat
	.globl	_ZN9rocsparseL23gebsr2gebsr_fast_kernelIL20rocsparse_direction_0ELi16ELi8E21rocsparse_complex_numIdEEEvii21rocsparse_index_base_PKT2_PKiS9_iiiiS4_PS5_PiSB_ii ; -- Begin function _ZN9rocsparseL23gebsr2gebsr_fast_kernelIL20rocsparse_direction_0ELi16ELi8E21rocsparse_complex_numIdEEEvii21rocsparse_index_base_PKT2_PKiS9_iiiiS4_PS5_PiSB_ii
	.p2align	8
	.type	_ZN9rocsparseL23gebsr2gebsr_fast_kernelIL20rocsparse_direction_0ELi16ELi8E21rocsparse_complex_numIdEEEvii21rocsparse_index_base_PKT2_PKiS9_iiiiS4_PS5_PiSB_ii,@function
_ZN9rocsparseL23gebsr2gebsr_fast_kernelIL20rocsparse_direction_0ELi16ELi8E21rocsparse_complex_numIdEEEvii21rocsparse_index_base_PKT2_PKiS9_iiiiS4_PS5_PiSB_ii: ; @_ZN9rocsparseL23gebsr2gebsr_fast_kernelIL20rocsparse_direction_0ELi16ELi8E21rocsparse_complex_numIdEEEvii21rocsparse_index_base_PKT2_PKiS9_iiiiS4_PS5_PiSB_ii
; %bb.0:
	s_load_dwordx4 s[8:11], s[4:5], 0x28
	s_load_dword s33, s[4:5], 0x38
	s_load_dwordx2 s[12:13], s[4:5], 0x58
	v_lshrrev_b32_e32 v4, 3, v0
	s_lshl_b32 s2, s6, 1
	s_waitcnt lgkmcnt(0)
	s_abs_i32 s3, s8
	v_cvt_f32_u32_e32 v1, s3
	s_sub_i32 s0, 0, s3
	v_and_b32_e32 v0, 7, v0
	s_load_dword s6, s[4:5], 0x0
	s_load_dword s38, s[4:5], 0x8
	v_rcp_iflag_f32_e32 v1, v1
	v_cmp_gt_i32_e32 vcc, s12, v0
	v_mul_f32_e32 v1, 0x4f7ffffe, v1
	v_cvt_u32_f32_e32 v5, v1
	v_or_b32_e32 v1, s2, v4
	v_mul_lo_u32 v6, s0, v5
	v_mad_u64_u32 v[2:3], s[0:1], v1, s12, v[0:1]
	v_mul_hi_u32 v3, v5, v6
	v_sub_u32_e32 v6, 0, v2
	v_max_i32_e32 v7, v2, v6
	v_xor_b32_e32 v2, s8, v2
	v_add_u32_e32 v3, v5, v3
	v_mul_hi_u32 v3, v7, v3
	v_ashrrev_i32_e32 v8, 31, v2
	v_mov_b32_e32 v5, 0
	v_mov_b32_e32 v6, 0
	v_mul_lo_u32 v9, v3, s3
	v_add_u32_e32 v2, 1, v3
	v_sub_u32_e32 v7, v7, v9
	v_cmp_le_u32_e64 s[0:1], s3, v7
	v_cndmask_b32_e64 v2, v3, v2, s[0:1]
	v_subrev_u32_e32 v3, s3, v7
	v_cndmask_b32_e64 v3, v7, v3, s[0:1]
	v_add_u32_e32 v7, 1, v2
	v_cmp_le_u32_e64 s[0:1], s3, v3
	v_cndmask_b32_e64 v2, v2, v7, s[0:1]
	v_xor_b32_e32 v9, v2, v8
	v_sub_u32_e32 v2, v9, v8
	s_waitcnt lgkmcnt(0)
	v_cmp_gt_i32_e64 s[0:1], s6, v2
	s_and_b64 s[6:7], vcc, s[0:1]
	v_mov_b32_e32 v7, 0
	s_and_saveexec_b64 s[0:1], s[6:7]
	s_cbranch_execnz .LBB40_3
; %bb.1:
	s_or_b64 exec, exec, s[0:1]
	v_cmp_gt_i32_e32 vcc, s10, v1
	s_and_saveexec_b64 s[0:1], vcc
	s_cbranch_execnz .LBB40_4
.LBB40_2:
	s_or_b64 exec, exec, s[0:1]
	s_cmp_lt_i32 s11, 1
	s_cbranch_scc0 .LBB40_5
	s_branch .LBB40_31
.LBB40_3:
	s_load_dwordx2 s[6:7], s[4:5], 0x18
	v_ashrrev_i32_e32 v3, 31, v2
	v_lshlrev_b64 v[2:3], 2, v[2:3]
	s_waitcnt lgkmcnt(0)
	v_mov_b32_e32 v6, s7
	v_add_co_u32_e32 v2, vcc, s6, v2
	v_addc_co_u32_e32 v3, vcc, v6, v3, vcc
	global_load_dwordx2 v[2:3], v[2:3], off
	s_waitcnt vmcnt(0)
	v_subrev_u32_e32 v7, s38, v2
	v_subrev_u32_e32 v6, s38, v3
	s_or_b64 exec, exec, s[0:1]
	v_cmp_gt_i32_e32 vcc, s10, v1
	s_and_saveexec_b64 s[0:1], vcc
	s_cbranch_execz .LBB40_2
.LBB40_4:
	s_load_dwordx2 s[6:7], s[4:5], 0x48
	v_ashrrev_i32_e32 v2, 31, v1
	v_lshlrev_b64 v[1:2], 2, v[1:2]
	s_waitcnt lgkmcnt(0)
	v_mov_b32_e32 v3, s7
	v_add_co_u32_e32 v1, vcc, s6, v1
	v_addc_co_u32_e32 v2, vcc, v3, v2, vcc
	global_load_dword v1, v[1:2], off
	s_waitcnt vmcnt(0)
	v_subrev_u32_e32 v5, s33, v1
	s_or_b64 exec, exec, s[0:1]
	s_cmp_lt_i32 s11, 1
	s_cbranch_scc1 .LBB40_31
.LBB40_5:
	s_cmp_gt_i32 s9, 0
	s_cselect_b64 s[20:21], -1, 0
	s_abs_i32 s10, s13
	v_cvt_f32_u32_e32 v1, s10
	v_add_u32_e32 v2, s2, v4
	s_sub_i32 s2, 0, s10
	s_load_dwordx2 s[6:7], s[4:5], 0x50
	s_load_dwordx2 s[14:15], s[4:5], 0x40
	;; [unrolled: 1-line block ×4, first 2 shown]
	v_rcp_iflag_f32_e32 v1, v1
	v_sub_u32_e32 v8, v8, v9
	v_cmp_eq_u32_e64 s[0:1], 7, v0
	s_ashr_i32 s39, s13, 31
	v_mul_f32_e32 v1, 0x4f7ffffe, v1
	v_cvt_u32_f32_e32 v3, v1
	v_mbcnt_lo_u32_b32 v1, -1, 0
	v_mbcnt_hi_u32_b32 v9, -1, v1
	v_lshl_or_b32 v9, v9, 2, 28
	v_mul_lo_u32 v4, s2, v3
	v_mad_u64_u32 v[1:2], s[2:3], s12, v2, v[0:1]
	v_cndmask_b32_e64 v2, 0, 1, s[20:21]
	v_mul_hi_u32 v4, v3, v4
	s_mul_i32 s40, s9, s8
	s_mov_b64 s[4:5], 0
	v_cmp_ne_u32_e64 s[2:3], 1, v2
	v_add_u32_e32 v10, v3, v4
	v_mov_b32_e32 v4, 0
	v_mov_b32_e32 v11, 0
	s_branch .LBB40_7
.LBB40_6:                               ;   in Loop: Header=BB40_7 Depth=1
	s_or_b64 exec, exec, s[20:21]
	s_waitcnt lgkmcnt(0)
	v_add_u32_e32 v4, 1, v12
	v_cmp_le_i32_e32 vcc, s11, v4
	s_or_b64 s[4:5], vcc, s[4:5]
	s_andn2_b64 exec, exec, s[4:5]
	s_cbranch_execz .LBB40_31
.LBB40_7:                               ; =>This Loop Header: Depth=1
                                        ;     Child Loop BB40_11 Depth 2
                                        ;       Child Loop BB40_13 Depth 3
                                        ;     Child Loop BB40_21 Depth 2
                                        ;       Child Loop BB40_24 Depth 3
	v_cmp_lt_i32_e32 vcc, v7, v6
	v_mov_b32_e32 v12, s11
	s_and_saveexec_b64 s[20:21], vcc
	s_cbranch_execz .LBB40_16
; %bb.8:                                ;   in Loop: Header=BB40_7 Depth=1
	s_mov_b64 s[22:23], 0
	v_mov_b32_e32 v12, s11
	v_mov_b32_e32 v2, v7
	s_branch .LBB40_11
.LBB40_9:                               ;   in Loop: Header=BB40_11 Depth=2
	s_mov_b64 s[24:25], 0
.LBB40_10:                              ;   in Loop: Header=BB40_11 Depth=2
	v_add_u32_e32 v2, 1, v2
	v_cmp_ge_i32_e32 vcc, v2, v6
	s_or_b64 s[24:25], s[24:25], vcc
	s_and_b64 s[24:25], exec, s[24:25]
	s_or_b64 s[22:23], s[24:25], s[22:23]
	s_andn2_b64 exec, exec, s[22:23]
	s_cbranch_execz .LBB40_15
.LBB40_11:                              ;   Parent Loop BB40_7 Depth=1
                                        ; =>  This Loop Header: Depth=2
                                        ;       Child Loop BB40_13 Depth 3
	s_and_b64 vcc, exec, s[2:3]
	s_cbranch_vccnz .LBB40_9
; %bb.12:                               ;   in Loop: Header=BB40_11 Depth=2
	v_ashrrev_i32_e32 v3, 31, v2
	v_lshlrev_b64 v[13:14], 2, v[2:3]
	s_waitcnt lgkmcnt(0)
	v_mov_b32_e32 v3, s19
	v_add_co_u32_e32 v13, vcc, s18, v13
	v_addc_co_u32_e32 v14, vcc, v3, v14, vcc
	global_load_dword v3, v[13:14], off
	s_mov_b32 s30, 0
	s_mov_b64 s[28:29], 0
	s_mov_b64 s[26:27], 0
                                        ; implicit-def: $sgpr24_sgpr25
	s_waitcnt vmcnt(0)
	v_subrev_u32_e32 v3, s38, v3
	v_mul_lo_u32 v3, v3, s9
.LBB40_13:                              ;   Parent Loop BB40_7 Depth=1
                                        ;     Parent Loop BB40_11 Depth=2
                                        ; =>    This Inner Loop Header: Depth=3
	v_add_u32_e32 v13, s30, v3
	v_sub_u32_e32 v15, 0, v13
	v_ashrrev_i32_e32 v14, 31, v13
	v_max_i32_e32 v13, v13, v15
	v_mul_hi_u32 v15, v13, v10
	v_xor_b32_e32 v14, s39, v14
	s_add_i32 s30, s30, 1
	v_mul_lo_u32 v16, v15, s10
	v_add_u32_e32 v17, 1, v15
	v_sub_u32_e32 v13, v13, v16
	v_cmp_le_u32_e32 vcc, s10, v13
	v_subrev_u32_e32 v16, s10, v13
	v_cndmask_b32_e32 v15, v15, v17, vcc
	v_cndmask_b32_e32 v13, v13, v16, vcc
	v_add_u32_e32 v16, 1, v15
	v_cmp_le_u32_e32 vcc, s10, v13
	v_cndmask_b32_e32 v13, v15, v16, vcc
	v_xor_b32_e32 v13, v13, v14
	v_sub_u32_e32 v13, v13, v14
	v_cmp_ge_i32_e32 vcc, v13, v4
	s_or_b64 s[28:29], vcc, s[28:29]
	s_cmp_ge_i32 s30, s9
	s_cselect_b64 s[34:35], -1, 0
	s_or_b64 s[34:35], vcc, s[34:35]
	s_and_b64 s[34:35], exec, s[34:35]
	s_or_b64 s[26:27], s[34:35], s[26:27]
	s_andn2_b64 s[24:25], s[24:25], exec
	s_and_b64 s[34:35], s[28:29], exec
	v_cndmask_b32_e32 v12, v12, v13, vcc
	v_cndmask_b32_e32 v7, v7, v2, vcc
	s_or_b64 s[24:25], s[24:25], s[34:35]
	s_andn2_b64 exec, exec, s[26:27]
	s_cbranch_execnz .LBB40_13
; %bb.14:                               ;   in Loop: Header=BB40_11 Depth=2
	s_or_b64 exec, exec, s[26:27]
	s_branch .LBB40_10
.LBB40_15:                              ;   in Loop: Header=BB40_7 Depth=1
	s_or_b64 exec, exec, s[22:23]
.LBB40_16:                              ;   in Loop: Header=BB40_7 Depth=1
	s_or_b64 exec, exec, s[20:21]
	v_mov_b32_dpp v2, v12 row_shr:1 row_mask:0xf bank_mask:0xf
	v_min_i32_e32 v2, v2, v12
	s_nop 1
	v_mov_b32_dpp v3, v2 row_shr:2 row_mask:0xf bank_mask:0xf
	v_min_i32_e32 v2, v3, v2
	s_nop 1
	v_mov_b32_dpp v3, v2 row_shr:4 row_mask:0xf bank_mask:0xe
	v_min_i32_e32 v2, v3, v2
	v_cmp_gt_i32_e32 vcc, s11, v2
	s_and_b64 s[22:23], s[0:1], vcc
	s_and_saveexec_b64 s[20:21], s[22:23]
	s_cbranch_execz .LBB40_18
; %bb.17:                               ;   in Loop: Header=BB40_7 Depth=1
	v_add_u32_e32 v3, v11, v5
	v_ashrrev_i32_e32 v4, 31, v3
	v_lshlrev_b64 v[3:4], 2, v[3:4]
	v_add_u32_e32 v12, 1, v11
	s_waitcnt lgkmcnt(0)
	v_mov_b32_e32 v11, s7
	v_add_co_u32_e32 v3, vcc, s6, v3
	v_addc_co_u32_e32 v4, vcc, v11, v4, vcc
	v_add_u32_e32 v11, s33, v2
	global_store_dword v[3:4], v11, off
	v_mov_b32_e32 v11, v12
.LBB40_18:                              ;   in Loop: Header=BB40_7 Depth=1
	s_or_b64 exec, exec, s[20:21]
	ds_bpermute_b32 v12, v9, v2
	ds_bpermute_b32 v11, v9, v11
	v_cmp_lt_i32_e32 vcc, v7, v6
	s_and_saveexec_b64 s[20:21], vcc
	s_cbranch_execz .LBB40_6
; %bb.19:                               ;   in Loop: Header=BB40_7 Depth=1
	v_add_u32_e32 v2, -1, v5
	s_waitcnt lgkmcnt(0)
	v_add_u32_e32 v2, v2, v11
	v_mad_u64_u32 v[2:3], s[22:23], v2, s12, v[0:1]
	v_add_u32_e32 v3, v8, v7
	v_mad_u64_u32 v[3:4], s[22:23], s8, v3, v[1:2]
	v_mul_lo_u32 v13, v2, s13
	s_mov_b64 s[22:23], 0
	v_mul_lo_u32 v14, s9, v3
	v_mov_b32_e32 v2, v7
	s_branch .LBB40_21
.LBB40_20:                              ;   in Loop: Header=BB40_21 Depth=2
	s_or_b64 exec, exec, s[28:29]
	s_and_b64 s[24:25], exec, s[24:25]
	s_or_b64 s[22:23], s[24:25], s[22:23]
	s_andn2_b64 exec, exec, s[22:23]
	s_cbranch_execz .LBB40_6
.LBB40_21:                              ;   Parent Loop BB40_7 Depth=1
                                        ; =>  This Loop Header: Depth=2
                                        ;       Child Loop BB40_24 Depth 3
	s_mov_b64 s[24:25], -1
	s_and_b64 vcc, exec, s[2:3]
	s_mov_b64 s[26:27], -1
	s_cbranch_vccnz .LBB40_29
; %bb.22:                               ;   in Loop: Header=BB40_21 Depth=2
	v_ashrrev_i32_e32 v3, 31, v2
	v_lshlrev_b64 v[3:4], 2, v[2:3]
	v_mov_b32_e32 v15, s19
	v_add_co_u32_e32 v3, vcc, s18, v3
	v_addc_co_u32_e32 v4, vcc, v15, v4, vcc
	global_load_dword v3, v[3:4], off
	s_mov_b64 s[28:29], 0
	s_mov_b32 s41, s9
                                        ; implicit-def: $sgpr26_sgpr27
	s_waitcnt vmcnt(0)
	v_subrev_u32_e32 v3, s38, v3
	v_mul_lo_u32 v15, v3, s9
	v_mov_b32_e32 v3, v14
	s_branch .LBB40_24
.LBB40_23:                              ;   in Loop: Header=BB40_24 Depth=3
	s_or_b64 exec, exec, s[36:37]
	s_xor_b64 s[34:35], s[34:35], -1
	s_and_b64 s[30:31], exec, s[30:31]
	s_or_b64 s[28:29], s[30:31], s[28:29]
	s_andn2_b64 s[26:27], s[26:27], exec
	s_and_b64 s[30:31], s[34:35], exec
	s_or_b64 s[26:27], s[26:27], s[30:31]
	s_andn2_b64 exec, exec, s[28:29]
	s_cbranch_execz .LBB40_28
.LBB40_24:                              ;   Parent Loop BB40_7 Depth=1
                                        ;     Parent Loop BB40_21 Depth=2
                                        ; =>    This Inner Loop Header: Depth=3
	v_sub_u32_e32 v4, 0, v15
	v_max_i32_e32 v4, v15, v4
	v_mul_hi_u32 v16, v4, v10
	v_ashrrev_i32_e32 v18, 31, v15
	v_xor_b32_e32 v18, s39, v18
	v_mul_lo_u32 v17, v16, s10
	v_add_u32_e32 v19, 1, v16
	v_sub_u32_e32 v4, v4, v17
	v_cmp_le_u32_e32 vcc, s10, v4
	v_subrev_u32_e32 v17, s10, v4
	v_cndmask_b32_e32 v16, v16, v19, vcc
	v_cndmask_b32_e32 v4, v4, v17, vcc
	v_add_u32_e32 v17, 1, v16
	v_cmp_le_u32_e32 vcc, s10, v4
	v_cndmask_b32_e32 v4, v16, v17, vcc
	v_xor_b32_e32 v4, v4, v18
	v_sub_u32_e32 v16, v4, v18
	v_cmp_eq_u32_e32 vcc, v16, v12
	s_and_saveexec_b64 s[30:31], vcc
	s_cbranch_execz .LBB40_26
; %bb.25:                               ;   in Loop: Header=BB40_24 Depth=3
	v_ashrrev_i32_e32 v4, 31, v3
	v_lshlrev_b64 v[17:18], 4, v[3:4]
	v_mov_b32_e32 v4, s17
	v_add_co_u32_e32 v17, vcc, s16, v17
	v_addc_co_u32_e32 v18, vcc, v4, v18, vcc
	global_load_dwordx4 v[17:20], v[17:18], off
	v_mul_lo_u32 v4, v12, s13
	v_sub_u32_e32 v4, v15, v4
	v_add_u32_e32 v21, v4, v13
	v_ashrrev_i32_e32 v22, 31, v21
	v_lshlrev_b64 v[21:22], 4, v[21:22]
	v_mov_b32_e32 v4, s15
	v_add_co_u32_e32 v21, vcc, s14, v21
	v_addc_co_u32_e32 v22, vcc, v4, v22, vcc
	s_waitcnt vmcnt(0)
	global_store_dwordx4 v[21:22], v[17:20], off
.LBB40_26:                              ;   in Loop: Header=BB40_24 Depth=3
	s_or_b64 exec, exec, s[30:31]
	v_cmp_le_i32_e32 vcc, v16, v12
	s_mov_b64 s[30:31], -1
	s_mov_b64 s[34:35], -1
	s_and_saveexec_b64 s[36:37], vcc
	s_cbranch_execz .LBB40_23
; %bb.27:                               ;   in Loop: Header=BB40_24 Depth=3
	s_add_i32 s41, s41, -1
	s_cmp_eq_u32 s41, 0
	s_cselect_b64 s[30:31], -1, 0
	v_add_u32_e32 v15, 1, v15
	v_add_u32_e32 v3, 1, v3
	s_xor_b64 s[34:35], exec, -1
	s_orn2_b64 s[30:31], s[30:31], exec
	s_branch .LBB40_23
.LBB40_28:                              ;   in Loop: Header=BB40_21 Depth=2
	s_or_b64 exec, exec, s[28:29]
.LBB40_29:                              ;   in Loop: Header=BB40_21 Depth=2
	s_and_saveexec_b64 s[28:29], s[26:27]
	s_cbranch_execz .LBB40_20
; %bb.30:                               ;   in Loop: Header=BB40_21 Depth=2
	v_add_u32_e32 v2, 1, v2
	v_cmp_ge_i32_e32 vcc, v2, v6
	v_add_u32_e32 v14, s40, v14
	s_orn2_b64 s[24:25], vcc, exec
	s_branch .LBB40_20
.LBB40_31:
	s_endpgm
	.section	.rodata,"a",@progbits
	.p2align	6, 0x0
	.amdhsa_kernel _ZN9rocsparseL23gebsr2gebsr_fast_kernelIL20rocsparse_direction_0ELi16ELi8E21rocsparse_complex_numIdEEEvii21rocsparse_index_base_PKT2_PKiS9_iiiiS4_PS5_PiSB_ii
		.amdhsa_group_segment_fixed_size 0
		.amdhsa_private_segment_fixed_size 0
		.amdhsa_kernarg_size 96
		.amdhsa_user_sgpr_count 6
		.amdhsa_user_sgpr_private_segment_buffer 1
		.amdhsa_user_sgpr_dispatch_ptr 0
		.amdhsa_user_sgpr_queue_ptr 0
		.amdhsa_user_sgpr_kernarg_segment_ptr 1
		.amdhsa_user_sgpr_dispatch_id 0
		.amdhsa_user_sgpr_flat_scratch_init 0
		.amdhsa_user_sgpr_private_segment_size 0
		.amdhsa_uses_dynamic_stack 0
		.amdhsa_system_sgpr_private_segment_wavefront_offset 0
		.amdhsa_system_sgpr_workgroup_id_x 1
		.amdhsa_system_sgpr_workgroup_id_y 0
		.amdhsa_system_sgpr_workgroup_id_z 0
		.amdhsa_system_sgpr_workgroup_info 0
		.amdhsa_system_vgpr_workitem_id 0
		.amdhsa_next_free_vgpr 23
		.amdhsa_next_free_sgpr 42
		.amdhsa_reserve_vcc 1
		.amdhsa_reserve_flat_scratch 0
		.amdhsa_float_round_mode_32 0
		.amdhsa_float_round_mode_16_64 0
		.amdhsa_float_denorm_mode_32 3
		.amdhsa_float_denorm_mode_16_64 3
		.amdhsa_dx10_clamp 1
		.amdhsa_ieee_mode 1
		.amdhsa_fp16_overflow 0
		.amdhsa_exception_fp_ieee_invalid_op 0
		.amdhsa_exception_fp_denorm_src 0
		.amdhsa_exception_fp_ieee_div_zero 0
		.amdhsa_exception_fp_ieee_overflow 0
		.amdhsa_exception_fp_ieee_underflow 0
		.amdhsa_exception_fp_ieee_inexact 0
		.amdhsa_exception_int_div_zero 0
	.end_amdhsa_kernel
	.section	.text._ZN9rocsparseL23gebsr2gebsr_fast_kernelIL20rocsparse_direction_0ELi16ELi8E21rocsparse_complex_numIdEEEvii21rocsparse_index_base_PKT2_PKiS9_iiiiS4_PS5_PiSB_ii,"axG",@progbits,_ZN9rocsparseL23gebsr2gebsr_fast_kernelIL20rocsparse_direction_0ELi16ELi8E21rocsparse_complex_numIdEEEvii21rocsparse_index_base_PKT2_PKiS9_iiiiS4_PS5_PiSB_ii,comdat
.Lfunc_end40:
	.size	_ZN9rocsparseL23gebsr2gebsr_fast_kernelIL20rocsparse_direction_0ELi16ELi8E21rocsparse_complex_numIdEEEvii21rocsparse_index_base_PKT2_PKiS9_iiiiS4_PS5_PiSB_ii, .Lfunc_end40-_ZN9rocsparseL23gebsr2gebsr_fast_kernelIL20rocsparse_direction_0ELi16ELi8E21rocsparse_complex_numIdEEEvii21rocsparse_index_base_PKT2_PKiS9_iiiiS4_PS5_PiSB_ii
                                        ; -- End function
	.set _ZN9rocsparseL23gebsr2gebsr_fast_kernelIL20rocsparse_direction_0ELi16ELi8E21rocsparse_complex_numIdEEEvii21rocsparse_index_base_PKT2_PKiS9_iiiiS4_PS5_PiSB_ii.num_vgpr, 23
	.set _ZN9rocsparseL23gebsr2gebsr_fast_kernelIL20rocsparse_direction_0ELi16ELi8E21rocsparse_complex_numIdEEEvii21rocsparse_index_base_PKT2_PKiS9_iiiiS4_PS5_PiSB_ii.num_agpr, 0
	.set _ZN9rocsparseL23gebsr2gebsr_fast_kernelIL20rocsparse_direction_0ELi16ELi8E21rocsparse_complex_numIdEEEvii21rocsparse_index_base_PKT2_PKiS9_iiiiS4_PS5_PiSB_ii.numbered_sgpr, 42
	.set _ZN9rocsparseL23gebsr2gebsr_fast_kernelIL20rocsparse_direction_0ELi16ELi8E21rocsparse_complex_numIdEEEvii21rocsparse_index_base_PKT2_PKiS9_iiiiS4_PS5_PiSB_ii.num_named_barrier, 0
	.set _ZN9rocsparseL23gebsr2gebsr_fast_kernelIL20rocsparse_direction_0ELi16ELi8E21rocsparse_complex_numIdEEEvii21rocsparse_index_base_PKT2_PKiS9_iiiiS4_PS5_PiSB_ii.private_seg_size, 0
	.set _ZN9rocsparseL23gebsr2gebsr_fast_kernelIL20rocsparse_direction_0ELi16ELi8E21rocsparse_complex_numIdEEEvii21rocsparse_index_base_PKT2_PKiS9_iiiiS4_PS5_PiSB_ii.uses_vcc, 1
	.set _ZN9rocsparseL23gebsr2gebsr_fast_kernelIL20rocsparse_direction_0ELi16ELi8E21rocsparse_complex_numIdEEEvii21rocsparse_index_base_PKT2_PKiS9_iiiiS4_PS5_PiSB_ii.uses_flat_scratch, 0
	.set _ZN9rocsparseL23gebsr2gebsr_fast_kernelIL20rocsparse_direction_0ELi16ELi8E21rocsparse_complex_numIdEEEvii21rocsparse_index_base_PKT2_PKiS9_iiiiS4_PS5_PiSB_ii.has_dyn_sized_stack, 0
	.set _ZN9rocsparseL23gebsr2gebsr_fast_kernelIL20rocsparse_direction_0ELi16ELi8E21rocsparse_complex_numIdEEEvii21rocsparse_index_base_PKT2_PKiS9_iiiiS4_PS5_PiSB_ii.has_recursion, 0
	.set _ZN9rocsparseL23gebsr2gebsr_fast_kernelIL20rocsparse_direction_0ELi16ELi8E21rocsparse_complex_numIdEEEvii21rocsparse_index_base_PKT2_PKiS9_iiiiS4_PS5_PiSB_ii.has_indirect_call, 0
	.section	.AMDGPU.csdata,"",@progbits
; Kernel info:
; codeLenInByte = 1520
; TotalNumSgprs: 46
; NumVgprs: 23
; ScratchSize: 0
; MemoryBound: 0
; FloatMode: 240
; IeeeMode: 1
; LDSByteSize: 0 bytes/workgroup (compile time only)
; SGPRBlocks: 5
; VGPRBlocks: 5
; NumSGPRsForWavesPerEU: 46
; NumVGPRsForWavesPerEU: 23
; Occupancy: 10
; WaveLimiterHint : 0
; COMPUTE_PGM_RSRC2:SCRATCH_EN: 0
; COMPUTE_PGM_RSRC2:USER_SGPR: 6
; COMPUTE_PGM_RSRC2:TRAP_HANDLER: 0
; COMPUTE_PGM_RSRC2:TGID_X_EN: 1
; COMPUTE_PGM_RSRC2:TGID_Y_EN: 0
; COMPUTE_PGM_RSRC2:TGID_Z_EN: 0
; COMPUTE_PGM_RSRC2:TIDIG_COMP_CNT: 0
	.section	.text._ZN9rocsparseL23gebsr2gebsr_fast_kernelIL20rocsparse_direction_0ELi16ELi16E21rocsparse_complex_numIdEEEvii21rocsparse_index_base_PKT2_PKiS9_iiiiS4_PS5_PiSB_ii,"axG",@progbits,_ZN9rocsparseL23gebsr2gebsr_fast_kernelIL20rocsparse_direction_0ELi16ELi16E21rocsparse_complex_numIdEEEvii21rocsparse_index_base_PKT2_PKiS9_iiiiS4_PS5_PiSB_ii,comdat
	.globl	_ZN9rocsparseL23gebsr2gebsr_fast_kernelIL20rocsparse_direction_0ELi16ELi16E21rocsparse_complex_numIdEEEvii21rocsparse_index_base_PKT2_PKiS9_iiiiS4_PS5_PiSB_ii ; -- Begin function _ZN9rocsparseL23gebsr2gebsr_fast_kernelIL20rocsparse_direction_0ELi16ELi16E21rocsparse_complex_numIdEEEvii21rocsparse_index_base_PKT2_PKiS9_iiiiS4_PS5_PiSB_ii
	.p2align	8
	.type	_ZN9rocsparseL23gebsr2gebsr_fast_kernelIL20rocsparse_direction_0ELi16ELi16E21rocsparse_complex_numIdEEEvii21rocsparse_index_base_PKT2_PKiS9_iiiiS4_PS5_PiSB_ii,@function
_ZN9rocsparseL23gebsr2gebsr_fast_kernelIL20rocsparse_direction_0ELi16ELi16E21rocsparse_complex_numIdEEEvii21rocsparse_index_base_PKT2_PKiS9_iiiiS4_PS5_PiSB_ii: ; @_ZN9rocsparseL23gebsr2gebsr_fast_kernelIL20rocsparse_direction_0ELi16ELi16E21rocsparse_complex_numIdEEEvii21rocsparse_index_base_PKT2_PKiS9_iiiiS4_PS5_PiSB_ii
; %bb.0:
	s_load_dwordx4 s[8:11], s[4:5], 0x28
	s_load_dword s33, s[4:5], 0x38
	s_load_dwordx2 s[12:13], s[4:5], 0x58
	s_load_dword s3, s[4:5], 0x0
	s_load_dword s38, s[4:5], 0x8
	s_mov_b32 s39, 0
	s_waitcnt lgkmcnt(0)
	s_abs_i32 s2, s8
	v_cvt_f32_u32_e32 v1, s2
	s_sub_i32 s0, 0, s2
	v_cmp_gt_i32_e32 vcc, s12, v0
	v_mov_b32_e32 v5, 0
	v_rcp_iflag_f32_e32 v1, v1
	v_mul_f32_e32 v1, 0x4f7ffffe, v1
	v_cvt_u32_f32_e32 v2, v1
	v_mul_lo_u32 v1, s0, v2
	s_mul_i32 s0, s12, s6
	v_mul_hi_u32 v3, v2, v1
	v_add_u32_e32 v1, s0, v0
	v_sub_u32_e32 v4, 0, v1
	v_max_i32_e32 v6, v1, v4
	v_add_u32_e32 v2, v2, v3
	v_mul_hi_u32 v2, v6, v2
	v_xor_b32_e32 v4, s8, v1
	v_ashrrev_i32_e32 v4, 31, v4
	v_mul_lo_u32 v3, v2, s2
	v_add_u32_e32 v7, 1, v2
	v_sub_u32_e32 v3, v6, v3
	v_cmp_le_u32_e64 s[0:1], s2, v3
	v_subrev_u32_e32 v6, s2, v3
	v_cndmask_b32_e64 v2, v2, v7, s[0:1]
	v_cndmask_b32_e64 v3, v3, v6, s[0:1]
	v_add_u32_e32 v6, 1, v2
	v_cmp_le_u32_e64 s[0:1], s2, v3
	v_cndmask_b32_e64 v2, v2, v6, s[0:1]
	v_xor_b32_e32 v7, v2, v4
	v_sub_u32_e32 v2, v7, v4
	v_cmp_gt_i32_e64 s[0:1], s3, v2
	s_and_b64 s[2:3], vcc, s[0:1]
	v_mov_b32_e32 v6, 0
	s_and_saveexec_b64 s[0:1], s[2:3]
	s_cbranch_execnz .LBB41_3
; %bb.1:
	s_or_b64 exec, exec, s[0:1]
	s_cmp_ge_i32 s6, s10
	s_cbranch_scc0 .LBB41_4
.LBB41_2:
	s_cmp_lt_i32 s11, 1
	s_cbranch_scc0 .LBB41_5
	s_branch .LBB41_31
.LBB41_3:
	s_load_dwordx2 s[2:3], s[4:5], 0x18
	v_ashrrev_i32_e32 v3, 31, v2
	v_lshlrev_b64 v[2:3], 2, v[2:3]
	s_waitcnt lgkmcnt(0)
	v_mov_b32_e32 v5, s3
	v_add_co_u32_e32 v2, vcc, s2, v2
	v_addc_co_u32_e32 v3, vcc, v5, v3, vcc
	global_load_dwordx2 v[2:3], v[2:3], off
	s_waitcnt vmcnt(0)
	v_subrev_u32_e32 v6, s38, v2
	v_subrev_u32_e32 v5, s38, v3
	s_or_b64 exec, exec, s[0:1]
	s_cmp_ge_i32 s6, s10
	s_cbranch_scc1 .LBB41_2
.LBB41_4:
	s_load_dwordx2 s[0:1], s[4:5], 0x48
	s_ashr_i32 s7, s6, 31
	s_lshl_b64 s[2:3], s[6:7], 2
	s_waitcnt lgkmcnt(0)
	s_add_u32 s0, s0, s2
	s_addc_u32 s1, s1, s3
	s_load_dword s0, s[0:1], 0x0
	s_waitcnt lgkmcnt(0)
	s_sub_i32 s39, s0, s33
	s_cmp_lt_i32 s11, 1
	s_cbranch_scc1 .LBB41_31
.LBB41_5:
	s_cmp_gt_i32 s9, 0
	s_cselect_b64 s[2:3], -1, 0
	s_abs_i32 s10, s13
	v_cvt_f32_u32_e32 v2, s10
	s_load_dwordx2 s[6:7], s[4:5], 0x50
	s_load_dwordx2 s[14:15], s[4:5], 0x40
	;; [unrolled: 1-line block ×4, first 2 shown]
	s_sub_i32 s4, 0, s10
	v_mbcnt_lo_u32_b32 v3, -1, 0
	v_rcp_iflag_f32_e32 v2, v2
	v_mbcnt_hi_u32_b32 v3, -1, v3
	v_cmp_eq_u32_e64 s[0:1], 15, v0
	v_sub_u32_e32 v7, v4, v7
	v_mul_f32_e32 v2, 0x4f7ffffe, v2
	v_cvt_u32_f32_e32 v2, v2
	s_mul_i32 s40, s9, s8
	v_mov_b32_e32 v4, 0
	s_add_i32 s41, s39, -1
	v_mul_lo_u32 v8, s4, v2
	s_ashr_i32 s42, s13, 31
	s_mov_b64 s[4:5], 0
	v_mov_b32_e32 v10, 0
	v_mul_hi_u32 v9, v2, v8
	v_lshl_or_b32 v8, v3, 2, 60
	v_add_u32_e32 v9, v2, v9
	v_cndmask_b32_e64 v2, 0, 1, s[2:3]
	v_cmp_ne_u32_e64 s[2:3], 1, v2
	s_branch .LBB41_7
.LBB41_6:                               ;   in Loop: Header=BB41_7 Depth=1
	s_or_b64 exec, exec, s[20:21]
	s_waitcnt lgkmcnt(0)
	v_add_u32_e32 v4, 1, v11
	v_cmp_le_i32_e32 vcc, s11, v4
	s_or_b64 s[4:5], vcc, s[4:5]
	s_andn2_b64 exec, exec, s[4:5]
	s_cbranch_execz .LBB41_31
.LBB41_7:                               ; =>This Loop Header: Depth=1
                                        ;     Child Loop BB41_11 Depth 2
                                        ;       Child Loop BB41_13 Depth 3
                                        ;     Child Loop BB41_21 Depth 2
                                        ;       Child Loop BB41_24 Depth 3
	v_cmp_lt_i32_e32 vcc, v6, v5
	v_mov_b32_e32 v11, s11
	s_and_saveexec_b64 s[20:21], vcc
	s_cbranch_execz .LBB41_16
; %bb.8:                                ;   in Loop: Header=BB41_7 Depth=1
	s_mov_b64 s[22:23], 0
	v_mov_b32_e32 v11, s11
	v_mov_b32_e32 v2, v6
	s_branch .LBB41_11
.LBB41_9:                               ;   in Loop: Header=BB41_11 Depth=2
	s_mov_b64 s[24:25], 0
.LBB41_10:                              ;   in Loop: Header=BB41_11 Depth=2
	v_add_u32_e32 v2, 1, v2
	v_cmp_ge_i32_e32 vcc, v2, v5
	s_or_b64 s[24:25], s[24:25], vcc
	s_and_b64 s[24:25], exec, s[24:25]
	s_or_b64 s[22:23], s[24:25], s[22:23]
	s_andn2_b64 exec, exec, s[22:23]
	s_cbranch_execz .LBB41_15
.LBB41_11:                              ;   Parent Loop BB41_7 Depth=1
                                        ; =>  This Loop Header: Depth=2
                                        ;       Child Loop BB41_13 Depth 3
	s_and_b64 vcc, exec, s[2:3]
	s_cbranch_vccnz .LBB41_9
; %bb.12:                               ;   in Loop: Header=BB41_11 Depth=2
	v_ashrrev_i32_e32 v3, 31, v2
	v_lshlrev_b64 v[12:13], 2, v[2:3]
	s_waitcnt lgkmcnt(0)
	v_mov_b32_e32 v3, s19
	v_add_co_u32_e32 v12, vcc, s18, v12
	v_addc_co_u32_e32 v13, vcc, v3, v13, vcc
	global_load_dword v3, v[12:13], off
	s_mov_b32 s30, 0
	s_mov_b64 s[28:29], 0
	s_mov_b64 s[26:27], 0
                                        ; implicit-def: $sgpr24_sgpr25
	s_waitcnt vmcnt(0)
	v_subrev_u32_e32 v3, s38, v3
	v_mul_lo_u32 v3, v3, s9
.LBB41_13:                              ;   Parent Loop BB41_7 Depth=1
                                        ;     Parent Loop BB41_11 Depth=2
                                        ; =>    This Inner Loop Header: Depth=3
	v_add_u32_e32 v12, s30, v3
	v_sub_u32_e32 v14, 0, v12
	v_ashrrev_i32_e32 v13, 31, v12
	v_max_i32_e32 v12, v12, v14
	v_mul_hi_u32 v14, v12, v9
	v_xor_b32_e32 v13, s42, v13
	s_add_i32 s30, s30, 1
	v_mul_lo_u32 v15, v14, s10
	v_add_u32_e32 v16, 1, v14
	v_sub_u32_e32 v12, v12, v15
	v_cmp_le_u32_e32 vcc, s10, v12
	v_subrev_u32_e32 v15, s10, v12
	v_cndmask_b32_e32 v14, v14, v16, vcc
	v_cndmask_b32_e32 v12, v12, v15, vcc
	v_add_u32_e32 v15, 1, v14
	v_cmp_le_u32_e32 vcc, s10, v12
	v_cndmask_b32_e32 v12, v14, v15, vcc
	v_xor_b32_e32 v12, v12, v13
	v_sub_u32_e32 v12, v12, v13
	v_cmp_ge_i32_e32 vcc, v12, v4
	s_or_b64 s[28:29], vcc, s[28:29]
	s_cmp_ge_i32 s30, s9
	s_cselect_b64 s[34:35], -1, 0
	s_or_b64 s[34:35], vcc, s[34:35]
	s_and_b64 s[34:35], exec, s[34:35]
	s_or_b64 s[26:27], s[34:35], s[26:27]
	s_andn2_b64 s[24:25], s[24:25], exec
	s_and_b64 s[34:35], s[28:29], exec
	v_cndmask_b32_e32 v11, v11, v12, vcc
	v_cndmask_b32_e32 v6, v6, v2, vcc
	s_or_b64 s[24:25], s[24:25], s[34:35]
	s_andn2_b64 exec, exec, s[26:27]
	s_cbranch_execnz .LBB41_13
; %bb.14:                               ;   in Loop: Header=BB41_11 Depth=2
	s_or_b64 exec, exec, s[26:27]
	s_branch .LBB41_10
.LBB41_15:                              ;   in Loop: Header=BB41_7 Depth=1
	s_or_b64 exec, exec, s[22:23]
.LBB41_16:                              ;   in Loop: Header=BB41_7 Depth=1
	s_or_b64 exec, exec, s[20:21]
	v_mov_b32_dpp v2, v11 row_shr:1 row_mask:0xf bank_mask:0xf
	v_min_i32_e32 v2, v2, v11
	s_nop 1
	v_mov_b32_dpp v3, v2 row_shr:2 row_mask:0xf bank_mask:0xf
	v_min_i32_e32 v2, v3, v2
	s_nop 1
	;; [unrolled: 3-line block ×3, first 2 shown]
	v_mov_b32_dpp v3, v2 row_shr:8 row_mask:0xf bank_mask:0xc
	v_min_i32_e32 v2, v3, v2
	v_cmp_gt_i32_e32 vcc, s11, v2
	s_and_b64 s[22:23], s[0:1], vcc
	s_and_saveexec_b64 s[20:21], s[22:23]
	s_cbranch_execz .LBB41_18
; %bb.17:                               ;   in Loop: Header=BB41_7 Depth=1
	v_add_u32_e32 v3, s39, v10
	v_ashrrev_i32_e32 v4, 31, v3
	v_lshlrev_b64 v[3:4], 2, v[3:4]
	v_add_u32_e32 v11, 1, v10
	s_waitcnt lgkmcnt(0)
	v_mov_b32_e32 v10, s7
	v_add_co_u32_e32 v3, vcc, s6, v3
	v_addc_co_u32_e32 v4, vcc, v10, v4, vcc
	v_add_u32_e32 v10, s33, v2
	global_store_dword v[3:4], v10, off
	v_mov_b32_e32 v10, v11
.LBB41_18:                              ;   in Loop: Header=BB41_7 Depth=1
	s_or_b64 exec, exec, s[20:21]
	ds_bpermute_b32 v11, v8, v2
	ds_bpermute_b32 v10, v8, v10
	v_cmp_lt_i32_e32 vcc, v6, v5
	s_and_saveexec_b64 s[20:21], vcc
	s_cbranch_execz .LBB41_6
; %bb.19:                               ;   in Loop: Header=BB41_7 Depth=1
	s_waitcnt lgkmcnt(0)
	v_add_u32_e32 v2, s41, v10
	v_mad_u64_u32 v[2:3], s[22:23], v2, s12, v[0:1]
	v_add_u32_e32 v3, v7, v6
	v_mul_lo_u32 v13, v11, s13
	v_mad_u64_u32 v[3:4], s[22:23], s8, v3, v[1:2]
	v_mul_lo_u32 v12, v2, s13
	s_mov_b64 s[22:23], 0
	v_mul_lo_u32 v14, s9, v3
	v_mov_b32_e32 v2, v6
	s_branch .LBB41_21
.LBB41_20:                              ;   in Loop: Header=BB41_21 Depth=2
	s_or_b64 exec, exec, s[28:29]
	s_and_b64 s[24:25], exec, s[24:25]
	s_or_b64 s[22:23], s[24:25], s[22:23]
	s_andn2_b64 exec, exec, s[22:23]
	s_cbranch_execz .LBB41_6
.LBB41_21:                              ;   Parent Loop BB41_7 Depth=1
                                        ; =>  This Loop Header: Depth=2
                                        ;       Child Loop BB41_24 Depth 3
	s_mov_b64 s[24:25], -1
	s_and_b64 vcc, exec, s[2:3]
	s_mov_b64 s[26:27], -1
	s_cbranch_vccnz .LBB41_29
; %bb.22:                               ;   in Loop: Header=BB41_21 Depth=2
	v_ashrrev_i32_e32 v3, 31, v2
	v_lshlrev_b64 v[3:4], 2, v[2:3]
	v_mov_b32_e32 v15, s19
	v_add_co_u32_e32 v3, vcc, s18, v3
	v_addc_co_u32_e32 v4, vcc, v15, v4, vcc
	global_load_dword v3, v[3:4], off
	s_mov_b64 s[28:29], 0
	s_mov_b32 s43, s9
                                        ; implicit-def: $sgpr26_sgpr27
	s_waitcnt vmcnt(0)
	v_subrev_u32_e32 v3, s38, v3
	v_mul_lo_u32 v15, v3, s9
	v_mov_b32_e32 v3, v14
	s_branch .LBB41_24
.LBB41_23:                              ;   in Loop: Header=BB41_24 Depth=3
	s_or_b64 exec, exec, s[36:37]
	s_xor_b64 s[34:35], s[34:35], -1
	s_and_b64 s[30:31], exec, s[30:31]
	s_or_b64 s[28:29], s[30:31], s[28:29]
	s_andn2_b64 s[26:27], s[26:27], exec
	s_and_b64 s[30:31], s[34:35], exec
	s_or_b64 s[26:27], s[26:27], s[30:31]
	s_andn2_b64 exec, exec, s[28:29]
	s_cbranch_execz .LBB41_28
.LBB41_24:                              ;   Parent Loop BB41_7 Depth=1
                                        ;     Parent Loop BB41_21 Depth=2
                                        ; =>    This Inner Loop Header: Depth=3
	v_sub_u32_e32 v4, 0, v15
	v_max_i32_e32 v4, v15, v4
	v_mul_hi_u32 v16, v4, v9
	v_ashrrev_i32_e32 v18, 31, v15
	v_xor_b32_e32 v18, s42, v18
	v_mul_lo_u32 v17, v16, s10
	v_add_u32_e32 v19, 1, v16
	v_sub_u32_e32 v4, v4, v17
	v_cmp_le_u32_e32 vcc, s10, v4
	v_subrev_u32_e32 v17, s10, v4
	v_cndmask_b32_e32 v16, v16, v19, vcc
	v_cndmask_b32_e32 v4, v4, v17, vcc
	v_add_u32_e32 v17, 1, v16
	v_cmp_le_u32_e32 vcc, s10, v4
	v_cndmask_b32_e32 v4, v16, v17, vcc
	v_xor_b32_e32 v4, v4, v18
	v_sub_u32_e32 v16, v4, v18
	v_cmp_eq_u32_e32 vcc, v16, v11
	s_and_saveexec_b64 s[30:31], vcc
	s_cbranch_execz .LBB41_26
; %bb.25:                               ;   in Loop: Header=BB41_24 Depth=3
	v_ashrrev_i32_e32 v4, 31, v3
	v_lshlrev_b64 v[17:18], 4, v[3:4]
	v_mov_b32_e32 v4, s17
	v_add_co_u32_e32 v17, vcc, s16, v17
	v_addc_co_u32_e32 v18, vcc, v4, v18, vcc
	global_load_dwordx4 v[17:20], v[17:18], off
	v_sub_u32_e32 v4, v15, v13
	v_add_u32_e32 v21, v4, v12
	v_ashrrev_i32_e32 v22, 31, v21
	v_lshlrev_b64 v[21:22], 4, v[21:22]
	v_mov_b32_e32 v4, s15
	v_add_co_u32_e32 v21, vcc, s14, v21
	v_addc_co_u32_e32 v22, vcc, v4, v22, vcc
	s_waitcnt vmcnt(0)
	global_store_dwordx4 v[21:22], v[17:20], off
.LBB41_26:                              ;   in Loop: Header=BB41_24 Depth=3
	s_or_b64 exec, exec, s[30:31]
	v_cmp_le_i32_e32 vcc, v16, v11
	s_mov_b64 s[30:31], -1
	s_mov_b64 s[34:35], -1
	s_and_saveexec_b64 s[36:37], vcc
	s_cbranch_execz .LBB41_23
; %bb.27:                               ;   in Loop: Header=BB41_24 Depth=3
	s_add_i32 s43, s43, -1
	s_cmp_eq_u32 s43, 0
	s_cselect_b64 s[30:31], -1, 0
	v_add_u32_e32 v15, 1, v15
	v_add_u32_e32 v3, 1, v3
	s_xor_b64 s[34:35], exec, -1
	s_orn2_b64 s[30:31], s[30:31], exec
	s_branch .LBB41_23
.LBB41_28:                              ;   in Loop: Header=BB41_21 Depth=2
	s_or_b64 exec, exec, s[28:29]
.LBB41_29:                              ;   in Loop: Header=BB41_21 Depth=2
	s_and_saveexec_b64 s[28:29], s[26:27]
	s_cbranch_execz .LBB41_20
; %bb.30:                               ;   in Loop: Header=BB41_21 Depth=2
	v_add_u32_e32 v2, 1, v2
	v_cmp_ge_i32_e32 vcc, v2, v5
	v_add_u32_e32 v14, s40, v14
	s_orn2_b64 s[24:25], vcc, exec
	s_branch .LBB41_20
.LBB41_31:
	s_endpgm
	.section	.rodata,"a",@progbits
	.p2align	6, 0x0
	.amdhsa_kernel _ZN9rocsparseL23gebsr2gebsr_fast_kernelIL20rocsparse_direction_0ELi16ELi16E21rocsparse_complex_numIdEEEvii21rocsparse_index_base_PKT2_PKiS9_iiiiS4_PS5_PiSB_ii
		.amdhsa_group_segment_fixed_size 0
		.amdhsa_private_segment_fixed_size 0
		.amdhsa_kernarg_size 96
		.amdhsa_user_sgpr_count 6
		.amdhsa_user_sgpr_private_segment_buffer 1
		.amdhsa_user_sgpr_dispatch_ptr 0
		.amdhsa_user_sgpr_queue_ptr 0
		.amdhsa_user_sgpr_kernarg_segment_ptr 1
		.amdhsa_user_sgpr_dispatch_id 0
		.amdhsa_user_sgpr_flat_scratch_init 0
		.amdhsa_user_sgpr_private_segment_size 0
		.amdhsa_uses_dynamic_stack 0
		.amdhsa_system_sgpr_private_segment_wavefront_offset 0
		.amdhsa_system_sgpr_workgroup_id_x 1
		.amdhsa_system_sgpr_workgroup_id_y 0
		.amdhsa_system_sgpr_workgroup_id_z 0
		.amdhsa_system_sgpr_workgroup_info 0
		.amdhsa_system_vgpr_workitem_id 0
		.amdhsa_next_free_vgpr 23
		.amdhsa_next_free_sgpr 44
		.amdhsa_reserve_vcc 1
		.amdhsa_reserve_flat_scratch 0
		.amdhsa_float_round_mode_32 0
		.amdhsa_float_round_mode_16_64 0
		.amdhsa_float_denorm_mode_32 3
		.amdhsa_float_denorm_mode_16_64 3
		.amdhsa_dx10_clamp 1
		.amdhsa_ieee_mode 1
		.amdhsa_fp16_overflow 0
		.amdhsa_exception_fp_ieee_invalid_op 0
		.amdhsa_exception_fp_denorm_src 0
		.amdhsa_exception_fp_ieee_div_zero 0
		.amdhsa_exception_fp_ieee_overflow 0
		.amdhsa_exception_fp_ieee_underflow 0
		.amdhsa_exception_fp_ieee_inexact 0
		.amdhsa_exception_int_div_zero 0
	.end_amdhsa_kernel
	.section	.text._ZN9rocsparseL23gebsr2gebsr_fast_kernelIL20rocsparse_direction_0ELi16ELi16E21rocsparse_complex_numIdEEEvii21rocsparse_index_base_PKT2_PKiS9_iiiiS4_PS5_PiSB_ii,"axG",@progbits,_ZN9rocsparseL23gebsr2gebsr_fast_kernelIL20rocsparse_direction_0ELi16ELi16E21rocsparse_complex_numIdEEEvii21rocsparse_index_base_PKT2_PKiS9_iiiiS4_PS5_PiSB_ii,comdat
.Lfunc_end41:
	.size	_ZN9rocsparseL23gebsr2gebsr_fast_kernelIL20rocsparse_direction_0ELi16ELi16E21rocsparse_complex_numIdEEEvii21rocsparse_index_base_PKT2_PKiS9_iiiiS4_PS5_PiSB_ii, .Lfunc_end41-_ZN9rocsparseL23gebsr2gebsr_fast_kernelIL20rocsparse_direction_0ELi16ELi16E21rocsparse_complex_numIdEEEvii21rocsparse_index_base_PKT2_PKiS9_iiiiS4_PS5_PiSB_ii
                                        ; -- End function
	.set _ZN9rocsparseL23gebsr2gebsr_fast_kernelIL20rocsparse_direction_0ELi16ELi16E21rocsparse_complex_numIdEEEvii21rocsparse_index_base_PKT2_PKiS9_iiiiS4_PS5_PiSB_ii.num_vgpr, 23
	.set _ZN9rocsparseL23gebsr2gebsr_fast_kernelIL20rocsparse_direction_0ELi16ELi16E21rocsparse_complex_numIdEEEvii21rocsparse_index_base_PKT2_PKiS9_iiiiS4_PS5_PiSB_ii.num_agpr, 0
	.set _ZN9rocsparseL23gebsr2gebsr_fast_kernelIL20rocsparse_direction_0ELi16ELi16E21rocsparse_complex_numIdEEEvii21rocsparse_index_base_PKT2_PKiS9_iiiiS4_PS5_PiSB_ii.numbered_sgpr, 44
	.set _ZN9rocsparseL23gebsr2gebsr_fast_kernelIL20rocsparse_direction_0ELi16ELi16E21rocsparse_complex_numIdEEEvii21rocsparse_index_base_PKT2_PKiS9_iiiiS4_PS5_PiSB_ii.num_named_barrier, 0
	.set _ZN9rocsparseL23gebsr2gebsr_fast_kernelIL20rocsparse_direction_0ELi16ELi16E21rocsparse_complex_numIdEEEvii21rocsparse_index_base_PKT2_PKiS9_iiiiS4_PS5_PiSB_ii.private_seg_size, 0
	.set _ZN9rocsparseL23gebsr2gebsr_fast_kernelIL20rocsparse_direction_0ELi16ELi16E21rocsparse_complex_numIdEEEvii21rocsparse_index_base_PKT2_PKiS9_iiiiS4_PS5_PiSB_ii.uses_vcc, 1
	.set _ZN9rocsparseL23gebsr2gebsr_fast_kernelIL20rocsparse_direction_0ELi16ELi16E21rocsparse_complex_numIdEEEvii21rocsparse_index_base_PKT2_PKiS9_iiiiS4_PS5_PiSB_ii.uses_flat_scratch, 0
	.set _ZN9rocsparseL23gebsr2gebsr_fast_kernelIL20rocsparse_direction_0ELi16ELi16E21rocsparse_complex_numIdEEEvii21rocsparse_index_base_PKT2_PKiS9_iiiiS4_PS5_PiSB_ii.has_dyn_sized_stack, 0
	.set _ZN9rocsparseL23gebsr2gebsr_fast_kernelIL20rocsparse_direction_0ELi16ELi16E21rocsparse_complex_numIdEEEvii21rocsparse_index_base_PKT2_PKiS9_iiiiS4_PS5_PiSB_ii.has_recursion, 0
	.set _ZN9rocsparseL23gebsr2gebsr_fast_kernelIL20rocsparse_direction_0ELi16ELi16E21rocsparse_complex_numIdEEEvii21rocsparse_index_base_PKT2_PKiS9_iiiiS4_PS5_PiSB_ii.has_indirect_call, 0
	.section	.AMDGPU.csdata,"",@progbits
; Kernel info:
; codeLenInByte = 1480
; TotalNumSgprs: 48
; NumVgprs: 23
; ScratchSize: 0
; MemoryBound: 0
; FloatMode: 240
; IeeeMode: 1
; LDSByteSize: 0 bytes/workgroup (compile time only)
; SGPRBlocks: 5
; VGPRBlocks: 5
; NumSGPRsForWavesPerEU: 48
; NumVGPRsForWavesPerEU: 23
; Occupancy: 10
; WaveLimiterHint : 0
; COMPUTE_PGM_RSRC2:SCRATCH_EN: 0
; COMPUTE_PGM_RSRC2:USER_SGPR: 6
; COMPUTE_PGM_RSRC2:TRAP_HANDLER: 0
; COMPUTE_PGM_RSRC2:TGID_X_EN: 1
; COMPUTE_PGM_RSRC2:TGID_Y_EN: 0
; COMPUTE_PGM_RSRC2:TGID_Z_EN: 0
; COMPUTE_PGM_RSRC2:TIDIG_COMP_CNT: 0
	.section	.text._ZN9rocsparseL23gebsr2gebsr_fast_kernelIL20rocsparse_direction_0ELi32ELi32E21rocsparse_complex_numIdEEEvii21rocsparse_index_base_PKT2_PKiS9_iiiiS4_PS5_PiSB_ii,"axG",@progbits,_ZN9rocsparseL23gebsr2gebsr_fast_kernelIL20rocsparse_direction_0ELi32ELi32E21rocsparse_complex_numIdEEEvii21rocsparse_index_base_PKT2_PKiS9_iiiiS4_PS5_PiSB_ii,comdat
	.globl	_ZN9rocsparseL23gebsr2gebsr_fast_kernelIL20rocsparse_direction_0ELi32ELi32E21rocsparse_complex_numIdEEEvii21rocsparse_index_base_PKT2_PKiS9_iiiiS4_PS5_PiSB_ii ; -- Begin function _ZN9rocsparseL23gebsr2gebsr_fast_kernelIL20rocsparse_direction_0ELi32ELi32E21rocsparse_complex_numIdEEEvii21rocsparse_index_base_PKT2_PKiS9_iiiiS4_PS5_PiSB_ii
	.p2align	8
	.type	_ZN9rocsparseL23gebsr2gebsr_fast_kernelIL20rocsparse_direction_0ELi32ELi32E21rocsparse_complex_numIdEEEvii21rocsparse_index_base_PKT2_PKiS9_iiiiS4_PS5_PiSB_ii,@function
_ZN9rocsparseL23gebsr2gebsr_fast_kernelIL20rocsparse_direction_0ELi32ELi32E21rocsparse_complex_numIdEEEvii21rocsparse_index_base_PKT2_PKiS9_iiiiS4_PS5_PiSB_ii: ; @_ZN9rocsparseL23gebsr2gebsr_fast_kernelIL20rocsparse_direction_0ELi32ELi32E21rocsparse_complex_numIdEEEvii21rocsparse_index_base_PKT2_PKiS9_iiiiS4_PS5_PiSB_ii
; %bb.0:
	s_load_dwordx4 s[8:11], s[4:5], 0x28
	s_load_dword s33, s[4:5], 0x38
	s_load_dwordx2 s[12:13], s[4:5], 0x58
	s_load_dword s3, s[4:5], 0x0
	s_load_dword s38, s[4:5], 0x8
	s_mov_b32 s39, 0
	s_waitcnt lgkmcnt(0)
	s_abs_i32 s2, s8
	v_cvt_f32_u32_e32 v1, s2
	s_sub_i32 s0, 0, s2
	v_cmp_gt_i32_e32 vcc, s12, v0
	v_mov_b32_e32 v5, 0
	v_rcp_iflag_f32_e32 v1, v1
	v_mul_f32_e32 v1, 0x4f7ffffe, v1
	v_cvt_u32_f32_e32 v2, v1
	v_mul_lo_u32 v1, s0, v2
	s_mul_i32 s0, s12, s6
	v_mul_hi_u32 v3, v2, v1
	v_add_u32_e32 v1, s0, v0
	v_sub_u32_e32 v4, 0, v1
	v_max_i32_e32 v6, v1, v4
	v_add_u32_e32 v2, v2, v3
	v_mul_hi_u32 v2, v6, v2
	v_xor_b32_e32 v4, s8, v1
	v_ashrrev_i32_e32 v4, 31, v4
	v_mul_lo_u32 v3, v2, s2
	v_add_u32_e32 v7, 1, v2
	v_sub_u32_e32 v3, v6, v3
	v_cmp_le_u32_e64 s[0:1], s2, v3
	v_subrev_u32_e32 v6, s2, v3
	v_cndmask_b32_e64 v2, v2, v7, s[0:1]
	v_cndmask_b32_e64 v3, v3, v6, s[0:1]
	v_add_u32_e32 v6, 1, v2
	v_cmp_le_u32_e64 s[0:1], s2, v3
	v_cndmask_b32_e64 v2, v2, v6, s[0:1]
	v_xor_b32_e32 v7, v2, v4
	v_sub_u32_e32 v2, v7, v4
	v_cmp_gt_i32_e64 s[0:1], s3, v2
	s_and_b64 s[2:3], vcc, s[0:1]
	v_mov_b32_e32 v6, 0
	s_and_saveexec_b64 s[0:1], s[2:3]
	s_cbranch_execnz .LBB42_3
; %bb.1:
	s_or_b64 exec, exec, s[0:1]
	s_cmp_ge_i32 s6, s10
	s_cbranch_scc0 .LBB42_4
.LBB42_2:
	s_cmp_lt_i32 s11, 1
	s_cbranch_scc0 .LBB42_5
	s_branch .LBB42_31
.LBB42_3:
	s_load_dwordx2 s[2:3], s[4:5], 0x18
	v_ashrrev_i32_e32 v3, 31, v2
	v_lshlrev_b64 v[2:3], 2, v[2:3]
	s_waitcnt lgkmcnt(0)
	v_mov_b32_e32 v5, s3
	v_add_co_u32_e32 v2, vcc, s2, v2
	v_addc_co_u32_e32 v3, vcc, v5, v3, vcc
	global_load_dwordx2 v[2:3], v[2:3], off
	s_waitcnt vmcnt(0)
	v_subrev_u32_e32 v6, s38, v2
	v_subrev_u32_e32 v5, s38, v3
	s_or_b64 exec, exec, s[0:1]
	s_cmp_ge_i32 s6, s10
	s_cbranch_scc1 .LBB42_2
.LBB42_4:
	s_load_dwordx2 s[0:1], s[4:5], 0x48
	s_ashr_i32 s7, s6, 31
	s_lshl_b64 s[2:3], s[6:7], 2
	s_waitcnt lgkmcnt(0)
	s_add_u32 s0, s0, s2
	s_addc_u32 s1, s1, s3
	s_load_dword s0, s[0:1], 0x0
	s_waitcnt lgkmcnt(0)
	s_sub_i32 s39, s0, s33
	s_cmp_lt_i32 s11, 1
	s_cbranch_scc1 .LBB42_31
.LBB42_5:
	s_cmp_gt_i32 s9, 0
	s_cselect_b64 s[2:3], -1, 0
	s_abs_i32 s10, s13
	v_cvt_f32_u32_e32 v2, s10
	s_load_dwordx2 s[6:7], s[4:5], 0x50
	s_load_dwordx2 s[14:15], s[4:5], 0x40
	;; [unrolled: 1-line block ×4, first 2 shown]
	s_sub_i32 s4, 0, s10
	v_sub_u32_e32 v7, v4, v7
	v_rcp_iflag_f32_e32 v2, v2
	v_mbcnt_lo_u32_b32 v3, -1, 0
	v_mov_b32_e32 v8, 0x7c
	v_mbcnt_hi_u32_b32 v3, -1, v3
	v_mul_f32_e32 v2, 0x4f7ffffe, v2
	v_cvt_u32_f32_e32 v2, v2
	v_cmp_eq_u32_e64 s[0:1], 31, v0
	s_mul_i32 s40, s9, s8
	s_add_i32 s41, s39, -1
	v_mul_lo_u32 v9, s4, v2
	s_ashr_i32 s42, s13, 31
	v_lshl_or_b32 v8, v3, 2, v8
	s_mov_b64 s[4:5], 0
	v_mul_hi_u32 v4, v2, v9
	v_mov_b32_e32 v10, 0
	v_add_u32_e32 v9, v2, v4
	v_cndmask_b32_e64 v2, 0, 1, s[2:3]
	v_mov_b32_e32 v4, 0
	v_cmp_ne_u32_e64 s[2:3], 1, v2
	s_branch .LBB42_7
.LBB42_6:                               ;   in Loop: Header=BB42_7 Depth=1
	s_or_b64 exec, exec, s[20:21]
	s_waitcnt lgkmcnt(0)
	v_add_u32_e32 v4, 1, v11
	v_cmp_le_i32_e32 vcc, s11, v4
	s_or_b64 s[4:5], vcc, s[4:5]
	s_andn2_b64 exec, exec, s[4:5]
	s_cbranch_execz .LBB42_31
.LBB42_7:                               ; =>This Loop Header: Depth=1
                                        ;     Child Loop BB42_11 Depth 2
                                        ;       Child Loop BB42_13 Depth 3
                                        ;     Child Loop BB42_21 Depth 2
                                        ;       Child Loop BB42_24 Depth 3
	v_cmp_lt_i32_e32 vcc, v6, v5
	v_mov_b32_e32 v11, s11
	s_and_saveexec_b64 s[20:21], vcc
	s_cbranch_execz .LBB42_16
; %bb.8:                                ;   in Loop: Header=BB42_7 Depth=1
	s_mov_b64 s[22:23], 0
	v_mov_b32_e32 v11, s11
	v_mov_b32_e32 v2, v6
	s_branch .LBB42_11
.LBB42_9:                               ;   in Loop: Header=BB42_11 Depth=2
	s_mov_b64 s[24:25], 0
.LBB42_10:                              ;   in Loop: Header=BB42_11 Depth=2
	v_add_u32_e32 v2, 1, v2
	v_cmp_ge_i32_e32 vcc, v2, v5
	s_or_b64 s[24:25], s[24:25], vcc
	s_and_b64 s[24:25], exec, s[24:25]
	s_or_b64 s[22:23], s[24:25], s[22:23]
	s_andn2_b64 exec, exec, s[22:23]
	s_cbranch_execz .LBB42_15
.LBB42_11:                              ;   Parent Loop BB42_7 Depth=1
                                        ; =>  This Loop Header: Depth=2
                                        ;       Child Loop BB42_13 Depth 3
	s_and_b64 vcc, exec, s[2:3]
	s_cbranch_vccnz .LBB42_9
; %bb.12:                               ;   in Loop: Header=BB42_11 Depth=2
	v_ashrrev_i32_e32 v3, 31, v2
	v_lshlrev_b64 v[12:13], 2, v[2:3]
	s_waitcnt lgkmcnt(0)
	v_mov_b32_e32 v3, s19
	v_add_co_u32_e32 v12, vcc, s18, v12
	v_addc_co_u32_e32 v13, vcc, v3, v13, vcc
	global_load_dword v3, v[12:13], off
	s_mov_b32 s30, 0
	s_mov_b64 s[28:29], 0
	s_mov_b64 s[26:27], 0
                                        ; implicit-def: $sgpr24_sgpr25
	s_waitcnt vmcnt(0)
	v_subrev_u32_e32 v3, s38, v3
	v_mul_lo_u32 v3, v3, s9
.LBB42_13:                              ;   Parent Loop BB42_7 Depth=1
                                        ;     Parent Loop BB42_11 Depth=2
                                        ; =>    This Inner Loop Header: Depth=3
	v_add_u32_e32 v12, s30, v3
	v_sub_u32_e32 v14, 0, v12
	v_ashrrev_i32_e32 v13, 31, v12
	v_max_i32_e32 v12, v12, v14
	v_mul_hi_u32 v14, v12, v9
	v_xor_b32_e32 v13, s42, v13
	s_add_i32 s30, s30, 1
	v_mul_lo_u32 v15, v14, s10
	v_add_u32_e32 v16, 1, v14
	v_sub_u32_e32 v12, v12, v15
	v_cmp_le_u32_e32 vcc, s10, v12
	v_subrev_u32_e32 v15, s10, v12
	v_cndmask_b32_e32 v14, v14, v16, vcc
	v_cndmask_b32_e32 v12, v12, v15, vcc
	v_add_u32_e32 v15, 1, v14
	v_cmp_le_u32_e32 vcc, s10, v12
	v_cndmask_b32_e32 v12, v14, v15, vcc
	v_xor_b32_e32 v12, v12, v13
	v_sub_u32_e32 v12, v12, v13
	v_cmp_ge_i32_e32 vcc, v12, v4
	s_or_b64 s[28:29], vcc, s[28:29]
	s_cmp_ge_i32 s30, s9
	s_cselect_b64 s[34:35], -1, 0
	s_or_b64 s[34:35], vcc, s[34:35]
	s_and_b64 s[34:35], exec, s[34:35]
	s_or_b64 s[26:27], s[34:35], s[26:27]
	s_andn2_b64 s[24:25], s[24:25], exec
	s_and_b64 s[34:35], s[28:29], exec
	v_cndmask_b32_e32 v11, v11, v12, vcc
	v_cndmask_b32_e32 v6, v6, v2, vcc
	s_or_b64 s[24:25], s[24:25], s[34:35]
	s_andn2_b64 exec, exec, s[26:27]
	s_cbranch_execnz .LBB42_13
; %bb.14:                               ;   in Loop: Header=BB42_11 Depth=2
	s_or_b64 exec, exec, s[26:27]
	s_branch .LBB42_10
.LBB42_15:                              ;   in Loop: Header=BB42_7 Depth=1
	s_or_b64 exec, exec, s[22:23]
.LBB42_16:                              ;   in Loop: Header=BB42_7 Depth=1
	s_or_b64 exec, exec, s[20:21]
	v_mov_b32_dpp v2, v11 row_shr:1 row_mask:0xf bank_mask:0xf
	v_min_i32_e32 v2, v2, v11
	s_nop 1
	v_mov_b32_dpp v3, v2 row_shr:2 row_mask:0xf bank_mask:0xf
	v_min_i32_e32 v2, v3, v2
	s_nop 1
	;; [unrolled: 3-line block ×4, first 2 shown]
	v_mov_b32_dpp v3, v2 row_bcast:15 row_mask:0xa bank_mask:0xf
	v_min_i32_e32 v2, v3, v2
	v_cmp_gt_i32_e32 vcc, s11, v2
	s_and_b64 s[22:23], s[0:1], vcc
	s_and_saveexec_b64 s[20:21], s[22:23]
	s_cbranch_execz .LBB42_18
; %bb.17:                               ;   in Loop: Header=BB42_7 Depth=1
	v_add_u32_e32 v3, s39, v10
	v_ashrrev_i32_e32 v4, 31, v3
	v_lshlrev_b64 v[3:4], 2, v[3:4]
	v_add_u32_e32 v11, 1, v10
	s_waitcnt lgkmcnt(0)
	v_mov_b32_e32 v10, s7
	v_add_co_u32_e32 v3, vcc, s6, v3
	v_addc_co_u32_e32 v4, vcc, v10, v4, vcc
	v_add_u32_e32 v10, s33, v2
	global_store_dword v[3:4], v10, off
	v_mov_b32_e32 v10, v11
.LBB42_18:                              ;   in Loop: Header=BB42_7 Depth=1
	s_or_b64 exec, exec, s[20:21]
	ds_bpermute_b32 v11, v8, v2
	ds_bpermute_b32 v10, v8, v10
	v_cmp_lt_i32_e32 vcc, v6, v5
	s_and_saveexec_b64 s[20:21], vcc
	s_cbranch_execz .LBB42_6
; %bb.19:                               ;   in Loop: Header=BB42_7 Depth=1
	s_waitcnt lgkmcnt(0)
	v_add_u32_e32 v2, s41, v10
	v_mad_u64_u32 v[2:3], s[22:23], v2, s12, v[0:1]
	v_add_u32_e32 v3, v7, v6
	v_mul_lo_u32 v13, v11, s13
	v_mad_u64_u32 v[3:4], s[22:23], s8, v3, v[1:2]
	v_mul_lo_u32 v12, v2, s13
	s_mov_b64 s[22:23], 0
	v_mul_lo_u32 v14, s9, v3
	v_mov_b32_e32 v2, v6
	s_branch .LBB42_21
.LBB42_20:                              ;   in Loop: Header=BB42_21 Depth=2
	s_or_b64 exec, exec, s[28:29]
	s_and_b64 s[24:25], exec, s[24:25]
	s_or_b64 s[22:23], s[24:25], s[22:23]
	s_andn2_b64 exec, exec, s[22:23]
	s_cbranch_execz .LBB42_6
.LBB42_21:                              ;   Parent Loop BB42_7 Depth=1
                                        ; =>  This Loop Header: Depth=2
                                        ;       Child Loop BB42_24 Depth 3
	s_mov_b64 s[24:25], -1
	s_and_b64 vcc, exec, s[2:3]
	s_mov_b64 s[26:27], -1
	s_cbranch_vccnz .LBB42_29
; %bb.22:                               ;   in Loop: Header=BB42_21 Depth=2
	v_ashrrev_i32_e32 v3, 31, v2
	v_lshlrev_b64 v[3:4], 2, v[2:3]
	v_mov_b32_e32 v15, s19
	v_add_co_u32_e32 v3, vcc, s18, v3
	v_addc_co_u32_e32 v4, vcc, v15, v4, vcc
	global_load_dword v3, v[3:4], off
	s_mov_b64 s[28:29], 0
	s_mov_b32 s43, s9
                                        ; implicit-def: $sgpr26_sgpr27
	s_waitcnt vmcnt(0)
	v_subrev_u32_e32 v3, s38, v3
	v_mul_lo_u32 v15, v3, s9
	v_mov_b32_e32 v3, v14
	s_branch .LBB42_24
.LBB42_23:                              ;   in Loop: Header=BB42_24 Depth=3
	s_or_b64 exec, exec, s[36:37]
	s_xor_b64 s[34:35], s[34:35], -1
	s_and_b64 s[30:31], exec, s[30:31]
	s_or_b64 s[28:29], s[30:31], s[28:29]
	s_andn2_b64 s[26:27], s[26:27], exec
	s_and_b64 s[30:31], s[34:35], exec
	s_or_b64 s[26:27], s[26:27], s[30:31]
	s_andn2_b64 exec, exec, s[28:29]
	s_cbranch_execz .LBB42_28
.LBB42_24:                              ;   Parent Loop BB42_7 Depth=1
                                        ;     Parent Loop BB42_21 Depth=2
                                        ; =>    This Inner Loop Header: Depth=3
	v_sub_u32_e32 v4, 0, v15
	v_max_i32_e32 v4, v15, v4
	v_mul_hi_u32 v16, v4, v9
	v_ashrrev_i32_e32 v18, 31, v15
	v_xor_b32_e32 v18, s42, v18
	v_mul_lo_u32 v17, v16, s10
	v_add_u32_e32 v19, 1, v16
	v_sub_u32_e32 v4, v4, v17
	v_cmp_le_u32_e32 vcc, s10, v4
	v_subrev_u32_e32 v17, s10, v4
	v_cndmask_b32_e32 v16, v16, v19, vcc
	v_cndmask_b32_e32 v4, v4, v17, vcc
	v_add_u32_e32 v17, 1, v16
	v_cmp_le_u32_e32 vcc, s10, v4
	v_cndmask_b32_e32 v4, v16, v17, vcc
	v_xor_b32_e32 v4, v4, v18
	v_sub_u32_e32 v16, v4, v18
	v_cmp_eq_u32_e32 vcc, v16, v11
	s_and_saveexec_b64 s[30:31], vcc
	s_cbranch_execz .LBB42_26
; %bb.25:                               ;   in Loop: Header=BB42_24 Depth=3
	v_ashrrev_i32_e32 v4, 31, v3
	v_lshlrev_b64 v[17:18], 4, v[3:4]
	v_mov_b32_e32 v4, s17
	v_add_co_u32_e32 v17, vcc, s16, v17
	v_addc_co_u32_e32 v18, vcc, v4, v18, vcc
	global_load_dwordx4 v[17:20], v[17:18], off
	v_sub_u32_e32 v4, v15, v13
	v_add_u32_e32 v21, v4, v12
	v_ashrrev_i32_e32 v22, 31, v21
	v_lshlrev_b64 v[21:22], 4, v[21:22]
	v_mov_b32_e32 v4, s15
	v_add_co_u32_e32 v21, vcc, s14, v21
	v_addc_co_u32_e32 v22, vcc, v4, v22, vcc
	s_waitcnt vmcnt(0)
	global_store_dwordx4 v[21:22], v[17:20], off
.LBB42_26:                              ;   in Loop: Header=BB42_24 Depth=3
	s_or_b64 exec, exec, s[30:31]
	v_cmp_le_i32_e32 vcc, v16, v11
	s_mov_b64 s[30:31], -1
	s_mov_b64 s[34:35], -1
	s_and_saveexec_b64 s[36:37], vcc
	s_cbranch_execz .LBB42_23
; %bb.27:                               ;   in Loop: Header=BB42_24 Depth=3
	s_add_i32 s43, s43, -1
	s_cmp_eq_u32 s43, 0
	s_cselect_b64 s[30:31], -1, 0
	v_add_u32_e32 v15, 1, v15
	v_add_u32_e32 v3, 1, v3
	s_xor_b64 s[34:35], exec, -1
	s_orn2_b64 s[30:31], s[30:31], exec
	s_branch .LBB42_23
.LBB42_28:                              ;   in Loop: Header=BB42_21 Depth=2
	s_or_b64 exec, exec, s[28:29]
.LBB42_29:                              ;   in Loop: Header=BB42_21 Depth=2
	s_and_saveexec_b64 s[28:29], s[26:27]
	s_cbranch_execz .LBB42_20
; %bb.30:                               ;   in Loop: Header=BB42_21 Depth=2
	v_add_u32_e32 v2, 1, v2
	v_cmp_ge_i32_e32 vcc, v2, v5
	v_add_u32_e32 v14, s40, v14
	s_orn2_b64 s[24:25], vcc, exec
	s_branch .LBB42_20
.LBB42_31:
	s_endpgm
	.section	.rodata,"a",@progbits
	.p2align	6, 0x0
	.amdhsa_kernel _ZN9rocsparseL23gebsr2gebsr_fast_kernelIL20rocsparse_direction_0ELi32ELi32E21rocsparse_complex_numIdEEEvii21rocsparse_index_base_PKT2_PKiS9_iiiiS4_PS5_PiSB_ii
		.amdhsa_group_segment_fixed_size 0
		.amdhsa_private_segment_fixed_size 0
		.amdhsa_kernarg_size 96
		.amdhsa_user_sgpr_count 6
		.amdhsa_user_sgpr_private_segment_buffer 1
		.amdhsa_user_sgpr_dispatch_ptr 0
		.amdhsa_user_sgpr_queue_ptr 0
		.amdhsa_user_sgpr_kernarg_segment_ptr 1
		.amdhsa_user_sgpr_dispatch_id 0
		.amdhsa_user_sgpr_flat_scratch_init 0
		.amdhsa_user_sgpr_private_segment_size 0
		.amdhsa_uses_dynamic_stack 0
		.amdhsa_system_sgpr_private_segment_wavefront_offset 0
		.amdhsa_system_sgpr_workgroup_id_x 1
		.amdhsa_system_sgpr_workgroup_id_y 0
		.amdhsa_system_sgpr_workgroup_id_z 0
		.amdhsa_system_sgpr_workgroup_info 0
		.amdhsa_system_vgpr_workitem_id 0
		.amdhsa_next_free_vgpr 23
		.amdhsa_next_free_sgpr 44
		.amdhsa_reserve_vcc 1
		.amdhsa_reserve_flat_scratch 0
		.amdhsa_float_round_mode_32 0
		.amdhsa_float_round_mode_16_64 0
		.amdhsa_float_denorm_mode_32 3
		.amdhsa_float_denorm_mode_16_64 3
		.amdhsa_dx10_clamp 1
		.amdhsa_ieee_mode 1
		.amdhsa_fp16_overflow 0
		.amdhsa_exception_fp_ieee_invalid_op 0
		.amdhsa_exception_fp_denorm_src 0
		.amdhsa_exception_fp_ieee_div_zero 0
		.amdhsa_exception_fp_ieee_overflow 0
		.amdhsa_exception_fp_ieee_underflow 0
		.amdhsa_exception_fp_ieee_inexact 0
		.amdhsa_exception_int_div_zero 0
	.end_amdhsa_kernel
	.section	.text._ZN9rocsparseL23gebsr2gebsr_fast_kernelIL20rocsparse_direction_0ELi32ELi32E21rocsparse_complex_numIdEEEvii21rocsparse_index_base_PKT2_PKiS9_iiiiS4_PS5_PiSB_ii,"axG",@progbits,_ZN9rocsparseL23gebsr2gebsr_fast_kernelIL20rocsparse_direction_0ELi32ELi32E21rocsparse_complex_numIdEEEvii21rocsparse_index_base_PKT2_PKiS9_iiiiS4_PS5_PiSB_ii,comdat
.Lfunc_end42:
	.size	_ZN9rocsparseL23gebsr2gebsr_fast_kernelIL20rocsparse_direction_0ELi32ELi32E21rocsparse_complex_numIdEEEvii21rocsparse_index_base_PKT2_PKiS9_iiiiS4_PS5_PiSB_ii, .Lfunc_end42-_ZN9rocsparseL23gebsr2gebsr_fast_kernelIL20rocsparse_direction_0ELi32ELi32E21rocsparse_complex_numIdEEEvii21rocsparse_index_base_PKT2_PKiS9_iiiiS4_PS5_PiSB_ii
                                        ; -- End function
	.set _ZN9rocsparseL23gebsr2gebsr_fast_kernelIL20rocsparse_direction_0ELi32ELi32E21rocsparse_complex_numIdEEEvii21rocsparse_index_base_PKT2_PKiS9_iiiiS4_PS5_PiSB_ii.num_vgpr, 23
	.set _ZN9rocsparseL23gebsr2gebsr_fast_kernelIL20rocsparse_direction_0ELi32ELi32E21rocsparse_complex_numIdEEEvii21rocsparse_index_base_PKT2_PKiS9_iiiiS4_PS5_PiSB_ii.num_agpr, 0
	.set _ZN9rocsparseL23gebsr2gebsr_fast_kernelIL20rocsparse_direction_0ELi32ELi32E21rocsparse_complex_numIdEEEvii21rocsparse_index_base_PKT2_PKiS9_iiiiS4_PS5_PiSB_ii.numbered_sgpr, 44
	.set _ZN9rocsparseL23gebsr2gebsr_fast_kernelIL20rocsparse_direction_0ELi32ELi32E21rocsparse_complex_numIdEEEvii21rocsparse_index_base_PKT2_PKiS9_iiiiS4_PS5_PiSB_ii.num_named_barrier, 0
	.set _ZN9rocsparseL23gebsr2gebsr_fast_kernelIL20rocsparse_direction_0ELi32ELi32E21rocsparse_complex_numIdEEEvii21rocsparse_index_base_PKT2_PKiS9_iiiiS4_PS5_PiSB_ii.private_seg_size, 0
	.set _ZN9rocsparseL23gebsr2gebsr_fast_kernelIL20rocsparse_direction_0ELi32ELi32E21rocsparse_complex_numIdEEEvii21rocsparse_index_base_PKT2_PKiS9_iiiiS4_PS5_PiSB_ii.uses_vcc, 1
	.set _ZN9rocsparseL23gebsr2gebsr_fast_kernelIL20rocsparse_direction_0ELi32ELi32E21rocsparse_complex_numIdEEEvii21rocsparse_index_base_PKT2_PKiS9_iiiiS4_PS5_PiSB_ii.uses_flat_scratch, 0
	.set _ZN9rocsparseL23gebsr2gebsr_fast_kernelIL20rocsparse_direction_0ELi32ELi32E21rocsparse_complex_numIdEEEvii21rocsparse_index_base_PKT2_PKiS9_iiiiS4_PS5_PiSB_ii.has_dyn_sized_stack, 0
	.set _ZN9rocsparseL23gebsr2gebsr_fast_kernelIL20rocsparse_direction_0ELi32ELi32E21rocsparse_complex_numIdEEEvii21rocsparse_index_base_PKT2_PKiS9_iiiiS4_PS5_PiSB_ii.has_recursion, 0
	.set _ZN9rocsparseL23gebsr2gebsr_fast_kernelIL20rocsparse_direction_0ELi32ELi32E21rocsparse_complex_numIdEEEvii21rocsparse_index_base_PKT2_PKiS9_iiiiS4_PS5_PiSB_ii.has_indirect_call, 0
	.section	.AMDGPU.csdata,"",@progbits
; Kernel info:
; codeLenInByte = 1504
; TotalNumSgprs: 48
; NumVgprs: 23
; ScratchSize: 0
; MemoryBound: 0
; FloatMode: 240
; IeeeMode: 1
; LDSByteSize: 0 bytes/workgroup (compile time only)
; SGPRBlocks: 5
; VGPRBlocks: 5
; NumSGPRsForWavesPerEU: 48
; NumVGPRsForWavesPerEU: 23
; Occupancy: 10
; WaveLimiterHint : 0
; COMPUTE_PGM_RSRC2:SCRATCH_EN: 0
; COMPUTE_PGM_RSRC2:USER_SGPR: 6
; COMPUTE_PGM_RSRC2:TRAP_HANDLER: 0
; COMPUTE_PGM_RSRC2:TGID_X_EN: 1
; COMPUTE_PGM_RSRC2:TGID_Y_EN: 0
; COMPUTE_PGM_RSRC2:TGID_Z_EN: 0
; COMPUTE_PGM_RSRC2:TIDIG_COMP_CNT: 0
	.section	.text._ZN9rocsparseL23gebsr2gebsr_fast_kernelIL20rocsparse_direction_1ELi16ELi2E21rocsparse_complex_numIdEEEvii21rocsparse_index_base_PKT2_PKiS9_iiiiS4_PS5_PiSB_ii,"axG",@progbits,_ZN9rocsparseL23gebsr2gebsr_fast_kernelIL20rocsparse_direction_1ELi16ELi2E21rocsparse_complex_numIdEEEvii21rocsparse_index_base_PKT2_PKiS9_iiiiS4_PS5_PiSB_ii,comdat
	.globl	_ZN9rocsparseL23gebsr2gebsr_fast_kernelIL20rocsparse_direction_1ELi16ELi2E21rocsparse_complex_numIdEEEvii21rocsparse_index_base_PKT2_PKiS9_iiiiS4_PS5_PiSB_ii ; -- Begin function _ZN9rocsparseL23gebsr2gebsr_fast_kernelIL20rocsparse_direction_1ELi16ELi2E21rocsparse_complex_numIdEEEvii21rocsparse_index_base_PKT2_PKiS9_iiiiS4_PS5_PiSB_ii
	.p2align	8
	.type	_ZN9rocsparseL23gebsr2gebsr_fast_kernelIL20rocsparse_direction_1ELi16ELi2E21rocsparse_complex_numIdEEEvii21rocsparse_index_base_PKT2_PKiS9_iiiiS4_PS5_PiSB_ii,@function
_ZN9rocsparseL23gebsr2gebsr_fast_kernelIL20rocsparse_direction_1ELi16ELi2E21rocsparse_complex_numIdEEEvii21rocsparse_index_base_PKT2_PKiS9_iiiiS4_PS5_PiSB_ii: ; @_ZN9rocsparseL23gebsr2gebsr_fast_kernelIL20rocsparse_direction_1ELi16ELi2E21rocsparse_complex_numIdEEEvii21rocsparse_index_base_PKT2_PKiS9_iiiiS4_PS5_PiSB_ii
; %bb.0:
	s_load_dwordx4 s[8:11], s[4:5], 0x28
	s_load_dword s33, s[4:5], 0x38
	s_load_dwordx2 s[12:13], s[4:5], 0x58
	v_lshrrev_b32_e32 v4, 1, v0
	s_lshl_b32 s2, s6, 3
	s_waitcnt lgkmcnt(0)
	s_abs_i32 s3, s8
	v_cvt_f32_u32_e32 v1, s3
	s_sub_i32 s0, 0, s3
	v_and_b32_e32 v0, 1, v0
	s_load_dword s6, s[4:5], 0x0
	s_load_dword s38, s[4:5], 0x8
	v_rcp_iflag_f32_e32 v1, v1
	v_cmp_gt_i32_e32 vcc, s12, v0
	v_mov_b32_e32 v7, 0
	v_mov_b32_e32 v8, 0
	v_mul_f32_e32 v1, 0x4f7ffffe, v1
	v_cvt_u32_f32_e32 v5, v1
	v_or_b32_e32 v1, s2, v4
	v_mul_lo_u32 v6, s0, v5
	v_mad_u64_u32 v[2:3], s[0:1], v1, s12, v[0:1]
	v_mul_hi_u32 v3, v5, v6
	v_sub_u32_e32 v6, 0, v2
	v_max_i32_e32 v6, v2, v6
	v_xor_b32_e32 v2, s8, v2
	v_add_u32_e32 v3, v5, v3
	v_mul_hi_u32 v3, v6, v3
	v_ashrrev_i32_e32 v5, 31, v2
	v_mul_lo_u32 v9, v3, s3
	v_add_u32_e32 v2, 1, v3
	v_sub_u32_e32 v6, v6, v9
	v_cmp_le_u32_e64 s[0:1], s3, v6
	v_cndmask_b32_e64 v2, v3, v2, s[0:1]
	v_subrev_u32_e32 v3, s3, v6
	v_cndmask_b32_e64 v3, v6, v3, s[0:1]
	v_add_u32_e32 v6, 1, v2
	v_cmp_le_u32_e64 s[0:1], s3, v3
	v_cndmask_b32_e64 v2, v2, v6, s[0:1]
	v_xor_b32_e32 v6, v2, v5
	v_sub_u32_e32 v2, v6, v5
	s_waitcnt lgkmcnt(0)
	v_cmp_gt_i32_e64 s[0:1], s6, v2
	s_and_b64 s[6:7], vcc, s[0:1]
	v_mov_b32_e32 v9, 0
	s_and_saveexec_b64 s[0:1], s[6:7]
	s_cbranch_execnz .LBB43_3
; %bb.1:
	s_or_b64 exec, exec, s[0:1]
	v_cmp_gt_i32_e32 vcc, s10, v1
	s_and_saveexec_b64 s[0:1], vcc
	s_cbranch_execnz .LBB43_4
.LBB43_2:
	s_or_b64 exec, exec, s[0:1]
	s_cmp_lt_i32 s11, 1
	s_cbranch_scc0 .LBB43_5
	s_branch .LBB43_31
.LBB43_3:
	s_load_dwordx2 s[6:7], s[4:5], 0x18
	v_ashrrev_i32_e32 v3, 31, v2
	v_lshlrev_b64 v[2:3], 2, v[2:3]
	s_waitcnt lgkmcnt(0)
	v_mov_b32_e32 v8, s7
	v_add_co_u32_e32 v2, vcc, s6, v2
	v_addc_co_u32_e32 v3, vcc, v8, v3, vcc
	global_load_dwordx2 v[2:3], v[2:3], off
	s_waitcnt vmcnt(0)
	v_subrev_u32_e32 v9, s38, v2
	v_subrev_u32_e32 v8, s38, v3
	s_or_b64 exec, exec, s[0:1]
	v_cmp_gt_i32_e32 vcc, s10, v1
	s_and_saveexec_b64 s[0:1], vcc
	s_cbranch_execz .LBB43_2
.LBB43_4:
	s_load_dwordx2 s[6:7], s[4:5], 0x48
	v_ashrrev_i32_e32 v2, 31, v1
	v_lshlrev_b64 v[1:2], 2, v[1:2]
	s_waitcnt lgkmcnt(0)
	v_mov_b32_e32 v3, s7
	v_add_co_u32_e32 v1, vcc, s6, v1
	v_addc_co_u32_e32 v2, vcc, v3, v2, vcc
	global_load_dword v1, v[1:2], off
	s_waitcnt vmcnt(0)
	v_subrev_u32_e32 v7, s33, v1
	s_or_b64 exec, exec, s[0:1]
	s_cmp_lt_i32 s11, 1
	s_cbranch_scc1 .LBB43_31
.LBB43_5:
	s_cmp_gt_i32 s9, 0
	s_cselect_b64 s[20:21], -1, 0
	s_abs_i32 s10, s13
	v_cvt_f32_u32_e32 v1, s10
	v_add_u32_e32 v3, s2, v4
	s_sub_i32 s2, 0, s10
	s_load_dwordx2 s[6:7], s[4:5], 0x50
	s_load_dwordx2 s[14:15], s[4:5], 0x40
	;; [unrolled: 1-line block ×4, first 2 shown]
	v_rcp_iflag_f32_e32 v1, v1
	v_mbcnt_lo_u32_b32 v2, -1, 0
	v_cmp_ne_u32_e64 s[0:1], 0, v0
	s_ashr_i32 s39, s13, 31
	v_mul_f32_e32 v1, 0x4f7ffffe, v1
	v_cvt_u32_f32_e32 v11, v1
	v_sub_u32_e32 v1, v5, v6
	v_mbcnt_hi_u32_b32 v5, -1, v2
	v_lshl_or_b32 v10, v5, 2, 4
	v_mul_lo_u32 v4, s2, v11
	v_mad_u64_u32 v[2:3], s[2:3], s12, v3, v[0:1]
	v_cndmask_b32_e64 v3, 0, 1, s[20:21]
	v_mul_hi_u32 v4, v11, v4
	s_mul_i32 s40, s9, s8
	v_mov_b32_e32 v5, 0
	s_mov_b64 s[4:5], 0
	v_add_u32_e32 v11, v11, v4
	v_cmp_ne_u32_e64 s[2:3], 1, v3
	v_mov_b32_e32 v12, 0
	s_branch .LBB43_7
.LBB43_6:                               ;   in Loop: Header=BB43_7 Depth=1
	s_or_b64 exec, exec, s[20:21]
	s_waitcnt lgkmcnt(0)
	v_add_u32_e32 v5, 1, v13
	v_cmp_le_i32_e32 vcc, s11, v5
	s_or_b64 s[4:5], vcc, s[4:5]
	s_andn2_b64 exec, exec, s[4:5]
	s_cbranch_execz .LBB43_31
.LBB43_7:                               ; =>This Loop Header: Depth=1
                                        ;     Child Loop BB43_11 Depth 2
                                        ;       Child Loop BB43_13 Depth 3
                                        ;     Child Loop BB43_21 Depth 2
                                        ;       Child Loop BB43_24 Depth 3
	v_cmp_lt_i32_e32 vcc, v9, v8
	v_mov_b32_e32 v6, s11
	s_and_saveexec_b64 s[20:21], vcc
	s_cbranch_execz .LBB43_16
; %bb.8:                                ;   in Loop: Header=BB43_7 Depth=1
	s_mov_b64 s[22:23], 0
	v_mov_b32_e32 v6, s11
	v_mov_b32_e32 v3, v9
	s_branch .LBB43_11
.LBB43_9:                               ;   in Loop: Header=BB43_11 Depth=2
	s_mov_b64 s[24:25], 0
.LBB43_10:                              ;   in Loop: Header=BB43_11 Depth=2
	v_add_u32_e32 v3, 1, v3
	v_cmp_ge_i32_e32 vcc, v3, v8
	s_or_b64 s[24:25], s[24:25], vcc
	s_and_b64 s[24:25], exec, s[24:25]
	s_or_b64 s[22:23], s[24:25], s[22:23]
	s_andn2_b64 exec, exec, s[22:23]
	s_cbranch_execz .LBB43_15
.LBB43_11:                              ;   Parent Loop BB43_7 Depth=1
                                        ; =>  This Loop Header: Depth=2
                                        ;       Child Loop BB43_13 Depth 3
	s_and_b64 vcc, exec, s[2:3]
	s_cbranch_vccnz .LBB43_9
; %bb.12:                               ;   in Loop: Header=BB43_11 Depth=2
	v_ashrrev_i32_e32 v4, 31, v3
	v_lshlrev_b64 v[13:14], 2, v[3:4]
	s_waitcnt lgkmcnt(0)
	v_mov_b32_e32 v4, s19
	v_add_co_u32_e32 v13, vcc, s18, v13
	v_addc_co_u32_e32 v14, vcc, v4, v14, vcc
	global_load_dword v4, v[13:14], off
	s_mov_b32 s30, 0
	s_mov_b64 s[28:29], 0
	s_mov_b64 s[26:27], 0
                                        ; implicit-def: $sgpr24_sgpr25
	s_waitcnt vmcnt(0)
	v_subrev_u32_e32 v4, s38, v4
	v_mul_lo_u32 v4, v4, s9
.LBB43_13:                              ;   Parent Loop BB43_7 Depth=1
                                        ;     Parent Loop BB43_11 Depth=2
                                        ; =>    This Inner Loop Header: Depth=3
	v_add_u32_e32 v13, s30, v4
	v_sub_u32_e32 v15, 0, v13
	v_ashrrev_i32_e32 v14, 31, v13
	v_max_i32_e32 v13, v13, v15
	v_mul_hi_u32 v15, v13, v11
	v_xor_b32_e32 v14, s39, v14
	s_add_i32 s30, s30, 1
	v_mul_lo_u32 v16, v15, s10
	v_add_u32_e32 v17, 1, v15
	v_sub_u32_e32 v13, v13, v16
	v_cmp_le_u32_e32 vcc, s10, v13
	v_subrev_u32_e32 v16, s10, v13
	v_cndmask_b32_e32 v15, v15, v17, vcc
	v_cndmask_b32_e32 v13, v13, v16, vcc
	v_add_u32_e32 v16, 1, v15
	v_cmp_le_u32_e32 vcc, s10, v13
	v_cndmask_b32_e32 v13, v15, v16, vcc
	v_xor_b32_e32 v13, v13, v14
	v_sub_u32_e32 v13, v13, v14
	v_cmp_ge_i32_e32 vcc, v13, v5
	s_or_b64 s[28:29], vcc, s[28:29]
	s_cmp_ge_i32 s30, s9
	s_cselect_b64 s[34:35], -1, 0
	s_or_b64 s[34:35], vcc, s[34:35]
	s_and_b64 s[34:35], exec, s[34:35]
	s_or_b64 s[26:27], s[34:35], s[26:27]
	s_andn2_b64 s[24:25], s[24:25], exec
	s_and_b64 s[34:35], s[28:29], exec
	v_cndmask_b32_e32 v6, v6, v13, vcc
	v_cndmask_b32_e32 v9, v9, v3, vcc
	s_or_b64 s[24:25], s[24:25], s[34:35]
	s_andn2_b64 exec, exec, s[26:27]
	s_cbranch_execnz .LBB43_13
; %bb.14:                               ;   in Loop: Header=BB43_11 Depth=2
	s_or_b64 exec, exec, s[26:27]
	s_branch .LBB43_10
.LBB43_15:                              ;   in Loop: Header=BB43_7 Depth=1
	s_or_b64 exec, exec, s[22:23]
.LBB43_16:                              ;   in Loop: Header=BB43_7 Depth=1
	s_or_b64 exec, exec, s[20:21]
	v_mov_b32_dpp v3, v6 row_shr:1 row_mask:0xf bank_mask:0xf
	v_min_i32_e32 v3, v3, v6
	v_cmp_gt_i32_e32 vcc, s11, v3
	s_and_b64 s[22:23], s[0:1], vcc
	s_and_saveexec_b64 s[20:21], s[22:23]
	s_cbranch_execz .LBB43_18
; %bb.17:                               ;   in Loop: Header=BB43_7 Depth=1
	v_add_u32_e32 v4, v12, v7
	v_ashrrev_i32_e32 v5, 31, v4
	v_lshlrev_b64 v[4:5], 2, v[4:5]
	v_add_u32_e32 v6, 1, v12
	s_waitcnt lgkmcnt(0)
	v_mov_b32_e32 v12, s7
	v_add_co_u32_e32 v4, vcc, s6, v4
	v_addc_co_u32_e32 v5, vcc, v12, v5, vcc
	v_add_u32_e32 v12, s33, v3
	global_store_dword v[4:5], v12, off
	v_mov_b32_e32 v12, v6
.LBB43_18:                              ;   in Loop: Header=BB43_7 Depth=1
	s_or_b64 exec, exec, s[20:21]
	ds_bpermute_b32 v13, v10, v3
	ds_bpermute_b32 v12, v10, v12
	v_cmp_lt_i32_e32 vcc, v9, v8
	s_and_saveexec_b64 s[20:21], vcc
	s_cbranch_execz .LBB43_6
; %bb.19:                               ;   in Loop: Header=BB43_7 Depth=1
	v_mad_u64_u32 v[3:4], s[22:23], s9, v9, v[1:2]
	v_add_u32_e32 v5, -1, v7
	s_waitcnt lgkmcnt(0)
	v_add_u32_e32 v4, v5, v12
	v_mul_lo_u32 v14, v4, s13
	v_mad_u64_u32 v[3:4], s[22:23], s8, v3, v[2:3]
	s_mov_b64 s[22:23], 0
	v_mov_b32_e32 v4, v9
	s_branch .LBB43_21
.LBB43_20:                              ;   in Loop: Header=BB43_21 Depth=2
	s_or_b64 exec, exec, s[28:29]
	s_and_b64 s[24:25], exec, s[24:25]
	s_or_b64 s[22:23], s[24:25], s[22:23]
	s_andn2_b64 exec, exec, s[22:23]
	s_cbranch_execz .LBB43_6
.LBB43_21:                              ;   Parent Loop BB43_7 Depth=1
                                        ; =>  This Loop Header: Depth=2
                                        ;       Child Loop BB43_24 Depth 3
	s_mov_b64 s[24:25], -1
	s_and_b64 vcc, exec, s[2:3]
	s_mov_b64 s[26:27], -1
	s_cbranch_vccnz .LBB43_29
; %bb.22:                               ;   in Loop: Header=BB43_21 Depth=2
	v_ashrrev_i32_e32 v5, 31, v4
	v_lshlrev_b64 v[5:6], 2, v[4:5]
	v_mov_b32_e32 v15, s19
	v_add_co_u32_e32 v5, vcc, s18, v5
	v_addc_co_u32_e32 v6, vcc, v15, v6, vcc
	global_load_dword v5, v[5:6], off
	s_mov_b64 s[28:29], 0
	s_mov_b32 s41, s9
                                        ; implicit-def: $sgpr26_sgpr27
	s_waitcnt vmcnt(0)
	v_subrev_u32_e32 v5, s38, v5
	v_mul_lo_u32 v15, v5, s9
	v_mov_b32_e32 v5, v3
	s_branch .LBB43_24
.LBB43_23:                              ;   in Loop: Header=BB43_24 Depth=3
	s_or_b64 exec, exec, s[36:37]
	s_xor_b64 s[34:35], s[34:35], -1
	s_and_b64 s[30:31], exec, s[30:31]
	s_or_b64 s[28:29], s[30:31], s[28:29]
	s_andn2_b64 s[26:27], s[26:27], exec
	s_and_b64 s[30:31], s[34:35], exec
	s_or_b64 s[26:27], s[26:27], s[30:31]
	s_andn2_b64 exec, exec, s[28:29]
	s_cbranch_execz .LBB43_28
.LBB43_24:                              ;   Parent Loop BB43_7 Depth=1
                                        ;     Parent Loop BB43_21 Depth=2
                                        ; =>    This Inner Loop Header: Depth=3
	v_sub_u32_e32 v6, 0, v15
	v_max_i32_e32 v6, v15, v6
	v_mul_hi_u32 v16, v6, v11
	v_ashrrev_i32_e32 v18, 31, v15
	v_xor_b32_e32 v18, s39, v18
	v_mul_lo_u32 v17, v16, s10
	v_add_u32_e32 v19, 1, v16
	v_sub_u32_e32 v6, v6, v17
	v_cmp_le_u32_e32 vcc, s10, v6
	v_subrev_u32_e32 v17, s10, v6
	v_cndmask_b32_e32 v16, v16, v19, vcc
	v_cndmask_b32_e32 v6, v6, v17, vcc
	v_add_u32_e32 v17, 1, v16
	v_cmp_le_u32_e32 vcc, s10, v6
	v_cndmask_b32_e32 v6, v16, v17, vcc
	v_xor_b32_e32 v6, v6, v18
	v_sub_u32_e32 v16, v6, v18
	v_cmp_eq_u32_e32 vcc, v16, v13
	s_and_saveexec_b64 s[30:31], vcc
	s_cbranch_execz .LBB43_26
; %bb.25:                               ;   in Loop: Header=BB43_24 Depth=3
	v_ashrrev_i32_e32 v6, 31, v5
	v_lshlrev_b64 v[17:18], 4, v[5:6]
	v_mov_b32_e32 v6, s17
	v_add_co_u32_e32 v17, vcc, s16, v17
	v_addc_co_u32_e32 v18, vcc, v6, v18, vcc
	global_load_dwordx4 v[17:20], v[17:18], off
	v_mul_lo_u32 v6, v13, s13
	v_sub_u32_e32 v6, v15, v6
	v_add_u32_e32 v6, v6, v14
	v_mad_u64_u32 v[21:22], s[34:35], v6, s12, v[0:1]
	v_mov_b32_e32 v6, s15
	v_ashrrev_i32_e32 v22, 31, v21
	v_lshlrev_b64 v[21:22], 4, v[21:22]
	v_add_co_u32_e32 v21, vcc, s14, v21
	v_addc_co_u32_e32 v22, vcc, v6, v22, vcc
	s_waitcnt vmcnt(0)
	global_store_dwordx4 v[21:22], v[17:20], off
.LBB43_26:                              ;   in Loop: Header=BB43_24 Depth=3
	s_or_b64 exec, exec, s[30:31]
	v_cmp_le_i32_e32 vcc, v16, v13
	s_mov_b64 s[30:31], -1
	s_mov_b64 s[34:35], -1
	s_and_saveexec_b64 s[36:37], vcc
	s_cbranch_execz .LBB43_23
; %bb.27:                               ;   in Loop: Header=BB43_24 Depth=3
	s_add_i32 s41, s41, -1
	s_cmp_eq_u32 s41, 0
	s_cselect_b64 s[30:31], -1, 0
	v_add_u32_e32 v15, 1, v15
	v_add_u32_e32 v5, s8, v5
	s_xor_b64 s[34:35], exec, -1
	s_orn2_b64 s[30:31], s[30:31], exec
	s_branch .LBB43_23
.LBB43_28:                              ;   in Loop: Header=BB43_21 Depth=2
	s_or_b64 exec, exec, s[28:29]
.LBB43_29:                              ;   in Loop: Header=BB43_21 Depth=2
	s_and_saveexec_b64 s[28:29], s[26:27]
	s_cbranch_execz .LBB43_20
; %bb.30:                               ;   in Loop: Header=BB43_21 Depth=2
	v_add_u32_e32 v4, 1, v4
	v_cmp_ge_i32_e32 vcc, v4, v8
	v_add_u32_e32 v3, s40, v3
	s_orn2_b64 s[24:25], vcc, exec
	s_branch .LBB43_20
.LBB43_31:
	s_endpgm
	.section	.rodata,"a",@progbits
	.p2align	6, 0x0
	.amdhsa_kernel _ZN9rocsparseL23gebsr2gebsr_fast_kernelIL20rocsparse_direction_1ELi16ELi2E21rocsparse_complex_numIdEEEvii21rocsparse_index_base_PKT2_PKiS9_iiiiS4_PS5_PiSB_ii
		.amdhsa_group_segment_fixed_size 0
		.amdhsa_private_segment_fixed_size 0
		.amdhsa_kernarg_size 96
		.amdhsa_user_sgpr_count 6
		.amdhsa_user_sgpr_private_segment_buffer 1
		.amdhsa_user_sgpr_dispatch_ptr 0
		.amdhsa_user_sgpr_queue_ptr 0
		.amdhsa_user_sgpr_kernarg_segment_ptr 1
		.amdhsa_user_sgpr_dispatch_id 0
		.amdhsa_user_sgpr_flat_scratch_init 0
		.amdhsa_user_sgpr_private_segment_size 0
		.amdhsa_uses_dynamic_stack 0
		.amdhsa_system_sgpr_private_segment_wavefront_offset 0
		.amdhsa_system_sgpr_workgroup_id_x 1
		.amdhsa_system_sgpr_workgroup_id_y 0
		.amdhsa_system_sgpr_workgroup_id_z 0
		.amdhsa_system_sgpr_workgroup_info 0
		.amdhsa_system_vgpr_workitem_id 0
		.amdhsa_next_free_vgpr 23
		.amdhsa_next_free_sgpr 42
		.amdhsa_reserve_vcc 1
		.amdhsa_reserve_flat_scratch 0
		.amdhsa_float_round_mode_32 0
		.amdhsa_float_round_mode_16_64 0
		.amdhsa_float_denorm_mode_32 3
		.amdhsa_float_denorm_mode_16_64 3
		.amdhsa_dx10_clamp 1
		.amdhsa_ieee_mode 1
		.amdhsa_fp16_overflow 0
		.amdhsa_exception_fp_ieee_invalid_op 0
		.amdhsa_exception_fp_denorm_src 0
		.amdhsa_exception_fp_ieee_div_zero 0
		.amdhsa_exception_fp_ieee_overflow 0
		.amdhsa_exception_fp_ieee_underflow 0
		.amdhsa_exception_fp_ieee_inexact 0
		.amdhsa_exception_int_div_zero 0
	.end_amdhsa_kernel
	.section	.text._ZN9rocsparseL23gebsr2gebsr_fast_kernelIL20rocsparse_direction_1ELi16ELi2E21rocsparse_complex_numIdEEEvii21rocsparse_index_base_PKT2_PKiS9_iiiiS4_PS5_PiSB_ii,"axG",@progbits,_ZN9rocsparseL23gebsr2gebsr_fast_kernelIL20rocsparse_direction_1ELi16ELi2E21rocsparse_complex_numIdEEEvii21rocsparse_index_base_PKT2_PKiS9_iiiiS4_PS5_PiSB_ii,comdat
.Lfunc_end43:
	.size	_ZN9rocsparseL23gebsr2gebsr_fast_kernelIL20rocsparse_direction_1ELi16ELi2E21rocsparse_complex_numIdEEEvii21rocsparse_index_base_PKT2_PKiS9_iiiiS4_PS5_PiSB_ii, .Lfunc_end43-_ZN9rocsparseL23gebsr2gebsr_fast_kernelIL20rocsparse_direction_1ELi16ELi2E21rocsparse_complex_numIdEEEvii21rocsparse_index_base_PKT2_PKiS9_iiiiS4_PS5_PiSB_ii
                                        ; -- End function
	.set _ZN9rocsparseL23gebsr2gebsr_fast_kernelIL20rocsparse_direction_1ELi16ELi2E21rocsparse_complex_numIdEEEvii21rocsparse_index_base_PKT2_PKiS9_iiiiS4_PS5_PiSB_ii.num_vgpr, 23
	.set _ZN9rocsparseL23gebsr2gebsr_fast_kernelIL20rocsparse_direction_1ELi16ELi2E21rocsparse_complex_numIdEEEvii21rocsparse_index_base_PKT2_PKiS9_iiiiS4_PS5_PiSB_ii.num_agpr, 0
	.set _ZN9rocsparseL23gebsr2gebsr_fast_kernelIL20rocsparse_direction_1ELi16ELi2E21rocsparse_complex_numIdEEEvii21rocsparse_index_base_PKT2_PKiS9_iiiiS4_PS5_PiSB_ii.numbered_sgpr, 42
	.set _ZN9rocsparseL23gebsr2gebsr_fast_kernelIL20rocsparse_direction_1ELi16ELi2E21rocsparse_complex_numIdEEEvii21rocsparse_index_base_PKT2_PKiS9_iiiiS4_PS5_PiSB_ii.num_named_barrier, 0
	.set _ZN9rocsparseL23gebsr2gebsr_fast_kernelIL20rocsparse_direction_1ELi16ELi2E21rocsparse_complex_numIdEEEvii21rocsparse_index_base_PKT2_PKiS9_iiiiS4_PS5_PiSB_ii.private_seg_size, 0
	.set _ZN9rocsparseL23gebsr2gebsr_fast_kernelIL20rocsparse_direction_1ELi16ELi2E21rocsparse_complex_numIdEEEvii21rocsparse_index_base_PKT2_PKiS9_iiiiS4_PS5_PiSB_ii.uses_vcc, 1
	.set _ZN9rocsparseL23gebsr2gebsr_fast_kernelIL20rocsparse_direction_1ELi16ELi2E21rocsparse_complex_numIdEEEvii21rocsparse_index_base_PKT2_PKiS9_iiiiS4_PS5_PiSB_ii.uses_flat_scratch, 0
	.set _ZN9rocsparseL23gebsr2gebsr_fast_kernelIL20rocsparse_direction_1ELi16ELi2E21rocsparse_complex_numIdEEEvii21rocsparse_index_base_PKT2_PKiS9_iiiiS4_PS5_PiSB_ii.has_dyn_sized_stack, 0
	.set _ZN9rocsparseL23gebsr2gebsr_fast_kernelIL20rocsparse_direction_1ELi16ELi2E21rocsparse_complex_numIdEEEvii21rocsparse_index_base_PKT2_PKiS9_iiiiS4_PS5_PiSB_ii.has_recursion, 0
	.set _ZN9rocsparseL23gebsr2gebsr_fast_kernelIL20rocsparse_direction_1ELi16ELi2E21rocsparse_complex_numIdEEEvii21rocsparse_index_base_PKT2_PKiS9_iiiiS4_PS5_PiSB_ii.has_indirect_call, 0
	.section	.AMDGPU.csdata,"",@progbits
; Kernel info:
; codeLenInByte = 1484
; TotalNumSgprs: 46
; NumVgprs: 23
; ScratchSize: 0
; MemoryBound: 0
; FloatMode: 240
; IeeeMode: 1
; LDSByteSize: 0 bytes/workgroup (compile time only)
; SGPRBlocks: 5
; VGPRBlocks: 5
; NumSGPRsForWavesPerEU: 46
; NumVGPRsForWavesPerEU: 23
; Occupancy: 10
; WaveLimiterHint : 0
; COMPUTE_PGM_RSRC2:SCRATCH_EN: 0
; COMPUTE_PGM_RSRC2:USER_SGPR: 6
; COMPUTE_PGM_RSRC2:TRAP_HANDLER: 0
; COMPUTE_PGM_RSRC2:TGID_X_EN: 1
; COMPUTE_PGM_RSRC2:TGID_Y_EN: 0
; COMPUTE_PGM_RSRC2:TGID_Z_EN: 0
; COMPUTE_PGM_RSRC2:TIDIG_COMP_CNT: 0
	.section	.text._ZN9rocsparseL23gebsr2gebsr_fast_kernelIL20rocsparse_direction_1ELi16ELi4E21rocsparse_complex_numIdEEEvii21rocsparse_index_base_PKT2_PKiS9_iiiiS4_PS5_PiSB_ii,"axG",@progbits,_ZN9rocsparseL23gebsr2gebsr_fast_kernelIL20rocsparse_direction_1ELi16ELi4E21rocsparse_complex_numIdEEEvii21rocsparse_index_base_PKT2_PKiS9_iiiiS4_PS5_PiSB_ii,comdat
	.globl	_ZN9rocsparseL23gebsr2gebsr_fast_kernelIL20rocsparse_direction_1ELi16ELi4E21rocsparse_complex_numIdEEEvii21rocsparse_index_base_PKT2_PKiS9_iiiiS4_PS5_PiSB_ii ; -- Begin function _ZN9rocsparseL23gebsr2gebsr_fast_kernelIL20rocsparse_direction_1ELi16ELi4E21rocsparse_complex_numIdEEEvii21rocsparse_index_base_PKT2_PKiS9_iiiiS4_PS5_PiSB_ii
	.p2align	8
	.type	_ZN9rocsparseL23gebsr2gebsr_fast_kernelIL20rocsparse_direction_1ELi16ELi4E21rocsparse_complex_numIdEEEvii21rocsparse_index_base_PKT2_PKiS9_iiiiS4_PS5_PiSB_ii,@function
_ZN9rocsparseL23gebsr2gebsr_fast_kernelIL20rocsparse_direction_1ELi16ELi4E21rocsparse_complex_numIdEEEvii21rocsparse_index_base_PKT2_PKiS9_iiiiS4_PS5_PiSB_ii: ; @_ZN9rocsparseL23gebsr2gebsr_fast_kernelIL20rocsparse_direction_1ELi16ELi4E21rocsparse_complex_numIdEEEvii21rocsparse_index_base_PKT2_PKiS9_iiiiS4_PS5_PiSB_ii
; %bb.0:
	s_load_dwordx4 s[8:11], s[4:5], 0x28
	s_load_dword s33, s[4:5], 0x38
	s_load_dwordx2 s[12:13], s[4:5], 0x58
	v_lshrrev_b32_e32 v4, 2, v0
	s_lshl_b32 s2, s6, 2
	s_waitcnt lgkmcnt(0)
	s_abs_i32 s3, s8
	v_cvt_f32_u32_e32 v1, s3
	s_sub_i32 s0, 0, s3
	v_and_b32_e32 v0, 3, v0
	s_load_dword s6, s[4:5], 0x0
	s_load_dword s38, s[4:5], 0x8
	v_rcp_iflag_f32_e32 v1, v1
	v_cmp_gt_i32_e32 vcc, s12, v0
	v_mov_b32_e32 v7, 0
	v_mov_b32_e32 v8, 0
	v_mul_f32_e32 v1, 0x4f7ffffe, v1
	v_cvt_u32_f32_e32 v5, v1
	v_or_b32_e32 v1, s2, v4
	v_mul_lo_u32 v6, s0, v5
	v_mad_u64_u32 v[2:3], s[0:1], v1, s12, v[0:1]
	v_mul_hi_u32 v3, v5, v6
	v_sub_u32_e32 v6, 0, v2
	v_max_i32_e32 v6, v2, v6
	v_xor_b32_e32 v2, s8, v2
	v_add_u32_e32 v3, v5, v3
	v_mul_hi_u32 v3, v6, v3
	v_ashrrev_i32_e32 v5, 31, v2
	v_mul_lo_u32 v9, v3, s3
	v_add_u32_e32 v2, 1, v3
	v_sub_u32_e32 v6, v6, v9
	v_cmp_le_u32_e64 s[0:1], s3, v6
	v_cndmask_b32_e64 v2, v3, v2, s[0:1]
	v_subrev_u32_e32 v3, s3, v6
	v_cndmask_b32_e64 v3, v6, v3, s[0:1]
	v_add_u32_e32 v6, 1, v2
	v_cmp_le_u32_e64 s[0:1], s3, v3
	v_cndmask_b32_e64 v2, v2, v6, s[0:1]
	v_xor_b32_e32 v6, v2, v5
	v_sub_u32_e32 v2, v6, v5
	s_waitcnt lgkmcnt(0)
	v_cmp_gt_i32_e64 s[0:1], s6, v2
	s_and_b64 s[6:7], vcc, s[0:1]
	v_mov_b32_e32 v9, 0
	s_and_saveexec_b64 s[0:1], s[6:7]
	s_cbranch_execnz .LBB44_3
; %bb.1:
	s_or_b64 exec, exec, s[0:1]
	v_cmp_gt_i32_e32 vcc, s10, v1
	s_and_saveexec_b64 s[0:1], vcc
	s_cbranch_execnz .LBB44_4
.LBB44_2:
	s_or_b64 exec, exec, s[0:1]
	s_cmp_lt_i32 s11, 1
	s_cbranch_scc0 .LBB44_5
	s_branch .LBB44_31
.LBB44_3:
	s_load_dwordx2 s[6:7], s[4:5], 0x18
	v_ashrrev_i32_e32 v3, 31, v2
	v_lshlrev_b64 v[2:3], 2, v[2:3]
	s_waitcnt lgkmcnt(0)
	v_mov_b32_e32 v8, s7
	v_add_co_u32_e32 v2, vcc, s6, v2
	v_addc_co_u32_e32 v3, vcc, v8, v3, vcc
	global_load_dwordx2 v[2:3], v[2:3], off
	s_waitcnt vmcnt(0)
	v_subrev_u32_e32 v9, s38, v2
	v_subrev_u32_e32 v8, s38, v3
	s_or_b64 exec, exec, s[0:1]
	v_cmp_gt_i32_e32 vcc, s10, v1
	s_and_saveexec_b64 s[0:1], vcc
	s_cbranch_execz .LBB44_2
.LBB44_4:
	s_load_dwordx2 s[6:7], s[4:5], 0x48
	v_ashrrev_i32_e32 v2, 31, v1
	v_lshlrev_b64 v[1:2], 2, v[1:2]
	s_waitcnt lgkmcnt(0)
	v_mov_b32_e32 v3, s7
	v_add_co_u32_e32 v1, vcc, s6, v1
	v_addc_co_u32_e32 v2, vcc, v3, v2, vcc
	global_load_dword v1, v[1:2], off
	s_waitcnt vmcnt(0)
	v_subrev_u32_e32 v7, s33, v1
	s_or_b64 exec, exec, s[0:1]
	s_cmp_lt_i32 s11, 1
	s_cbranch_scc1 .LBB44_31
.LBB44_5:
	s_cmp_gt_i32 s9, 0
	s_cselect_b64 s[20:21], -1, 0
	s_abs_i32 s10, s13
	v_cvt_f32_u32_e32 v1, s10
	v_add_u32_e32 v3, s2, v4
	s_sub_i32 s2, 0, s10
	s_load_dwordx2 s[6:7], s[4:5], 0x50
	s_load_dwordx2 s[14:15], s[4:5], 0x40
	;; [unrolled: 1-line block ×4, first 2 shown]
	v_rcp_iflag_f32_e32 v1, v1
	v_mbcnt_lo_u32_b32 v2, -1, 0
	v_cmp_eq_u32_e64 s[0:1], 3, v0
	s_ashr_i32 s39, s13, 31
	v_mul_f32_e32 v1, 0x4f7ffffe, v1
	v_cvt_u32_f32_e32 v11, v1
	v_sub_u32_e32 v1, v5, v6
	v_mbcnt_hi_u32_b32 v5, -1, v2
	v_lshl_or_b32 v10, v5, 2, 12
	v_mul_lo_u32 v4, s2, v11
	v_mad_u64_u32 v[2:3], s[2:3], s12, v3, v[0:1]
	v_cndmask_b32_e64 v3, 0, 1, s[20:21]
	v_mul_hi_u32 v4, v11, v4
	s_mul_i32 s40, s9, s8
	v_mov_b32_e32 v5, 0
	s_mov_b64 s[4:5], 0
	v_add_u32_e32 v11, v11, v4
	v_cmp_ne_u32_e64 s[2:3], 1, v3
	v_mov_b32_e32 v12, 0
	s_branch .LBB44_7
.LBB44_6:                               ;   in Loop: Header=BB44_7 Depth=1
	s_or_b64 exec, exec, s[20:21]
	s_waitcnt lgkmcnt(0)
	v_add_u32_e32 v5, 1, v13
	v_cmp_le_i32_e32 vcc, s11, v5
	s_or_b64 s[4:5], vcc, s[4:5]
	s_andn2_b64 exec, exec, s[4:5]
	s_cbranch_execz .LBB44_31
.LBB44_7:                               ; =>This Loop Header: Depth=1
                                        ;     Child Loop BB44_11 Depth 2
                                        ;       Child Loop BB44_13 Depth 3
                                        ;     Child Loop BB44_21 Depth 2
                                        ;       Child Loop BB44_24 Depth 3
	v_cmp_lt_i32_e32 vcc, v9, v8
	v_mov_b32_e32 v6, s11
	s_and_saveexec_b64 s[20:21], vcc
	s_cbranch_execz .LBB44_16
; %bb.8:                                ;   in Loop: Header=BB44_7 Depth=1
	s_mov_b64 s[22:23], 0
	v_mov_b32_e32 v6, s11
	v_mov_b32_e32 v3, v9
	s_branch .LBB44_11
.LBB44_9:                               ;   in Loop: Header=BB44_11 Depth=2
	s_mov_b64 s[24:25], 0
.LBB44_10:                              ;   in Loop: Header=BB44_11 Depth=2
	v_add_u32_e32 v3, 1, v3
	v_cmp_ge_i32_e32 vcc, v3, v8
	s_or_b64 s[24:25], s[24:25], vcc
	s_and_b64 s[24:25], exec, s[24:25]
	s_or_b64 s[22:23], s[24:25], s[22:23]
	s_andn2_b64 exec, exec, s[22:23]
	s_cbranch_execz .LBB44_15
.LBB44_11:                              ;   Parent Loop BB44_7 Depth=1
                                        ; =>  This Loop Header: Depth=2
                                        ;       Child Loop BB44_13 Depth 3
	s_and_b64 vcc, exec, s[2:3]
	s_cbranch_vccnz .LBB44_9
; %bb.12:                               ;   in Loop: Header=BB44_11 Depth=2
	v_ashrrev_i32_e32 v4, 31, v3
	v_lshlrev_b64 v[13:14], 2, v[3:4]
	s_waitcnt lgkmcnt(0)
	v_mov_b32_e32 v4, s19
	v_add_co_u32_e32 v13, vcc, s18, v13
	v_addc_co_u32_e32 v14, vcc, v4, v14, vcc
	global_load_dword v4, v[13:14], off
	s_mov_b32 s30, 0
	s_mov_b64 s[28:29], 0
	s_mov_b64 s[26:27], 0
                                        ; implicit-def: $sgpr24_sgpr25
	s_waitcnt vmcnt(0)
	v_subrev_u32_e32 v4, s38, v4
	v_mul_lo_u32 v4, v4, s9
.LBB44_13:                              ;   Parent Loop BB44_7 Depth=1
                                        ;     Parent Loop BB44_11 Depth=2
                                        ; =>    This Inner Loop Header: Depth=3
	v_add_u32_e32 v13, s30, v4
	v_sub_u32_e32 v15, 0, v13
	v_ashrrev_i32_e32 v14, 31, v13
	v_max_i32_e32 v13, v13, v15
	v_mul_hi_u32 v15, v13, v11
	v_xor_b32_e32 v14, s39, v14
	s_add_i32 s30, s30, 1
	v_mul_lo_u32 v16, v15, s10
	v_add_u32_e32 v17, 1, v15
	v_sub_u32_e32 v13, v13, v16
	v_cmp_le_u32_e32 vcc, s10, v13
	v_subrev_u32_e32 v16, s10, v13
	v_cndmask_b32_e32 v15, v15, v17, vcc
	v_cndmask_b32_e32 v13, v13, v16, vcc
	v_add_u32_e32 v16, 1, v15
	v_cmp_le_u32_e32 vcc, s10, v13
	v_cndmask_b32_e32 v13, v15, v16, vcc
	v_xor_b32_e32 v13, v13, v14
	v_sub_u32_e32 v13, v13, v14
	v_cmp_ge_i32_e32 vcc, v13, v5
	s_or_b64 s[28:29], vcc, s[28:29]
	s_cmp_ge_i32 s30, s9
	s_cselect_b64 s[34:35], -1, 0
	s_or_b64 s[34:35], vcc, s[34:35]
	s_and_b64 s[34:35], exec, s[34:35]
	s_or_b64 s[26:27], s[34:35], s[26:27]
	s_andn2_b64 s[24:25], s[24:25], exec
	s_and_b64 s[34:35], s[28:29], exec
	v_cndmask_b32_e32 v6, v6, v13, vcc
	v_cndmask_b32_e32 v9, v9, v3, vcc
	s_or_b64 s[24:25], s[24:25], s[34:35]
	s_andn2_b64 exec, exec, s[26:27]
	s_cbranch_execnz .LBB44_13
; %bb.14:                               ;   in Loop: Header=BB44_11 Depth=2
	s_or_b64 exec, exec, s[26:27]
	s_branch .LBB44_10
.LBB44_15:                              ;   in Loop: Header=BB44_7 Depth=1
	s_or_b64 exec, exec, s[22:23]
.LBB44_16:                              ;   in Loop: Header=BB44_7 Depth=1
	s_or_b64 exec, exec, s[20:21]
	v_mov_b32_dpp v3, v6 row_shr:1 row_mask:0xf bank_mask:0xf
	v_min_i32_e32 v3, v3, v6
	s_nop 1
	v_mov_b32_dpp v4, v3 row_shr:2 row_mask:0xf bank_mask:0xf
	v_min_i32_e32 v3, v4, v3
	v_cmp_gt_i32_e32 vcc, s11, v3
	s_and_b64 s[22:23], s[0:1], vcc
	s_and_saveexec_b64 s[20:21], s[22:23]
	s_cbranch_execz .LBB44_18
; %bb.17:                               ;   in Loop: Header=BB44_7 Depth=1
	v_add_u32_e32 v4, v12, v7
	v_ashrrev_i32_e32 v5, 31, v4
	v_lshlrev_b64 v[4:5], 2, v[4:5]
	v_add_u32_e32 v6, 1, v12
	s_waitcnt lgkmcnt(0)
	v_mov_b32_e32 v12, s7
	v_add_co_u32_e32 v4, vcc, s6, v4
	v_addc_co_u32_e32 v5, vcc, v12, v5, vcc
	v_add_u32_e32 v12, s33, v3
	global_store_dword v[4:5], v12, off
	v_mov_b32_e32 v12, v6
.LBB44_18:                              ;   in Loop: Header=BB44_7 Depth=1
	s_or_b64 exec, exec, s[20:21]
	ds_bpermute_b32 v13, v10, v3
	ds_bpermute_b32 v12, v10, v12
	v_cmp_lt_i32_e32 vcc, v9, v8
	s_and_saveexec_b64 s[20:21], vcc
	s_cbranch_execz .LBB44_6
; %bb.19:                               ;   in Loop: Header=BB44_7 Depth=1
	v_mad_u64_u32 v[3:4], s[22:23], s9, v9, v[1:2]
	v_add_u32_e32 v5, -1, v7
	s_waitcnt lgkmcnt(0)
	v_add_u32_e32 v4, v5, v12
	v_mul_lo_u32 v14, v4, s13
	v_mad_u64_u32 v[3:4], s[22:23], s8, v3, v[2:3]
	s_mov_b64 s[22:23], 0
	v_mov_b32_e32 v4, v9
	s_branch .LBB44_21
.LBB44_20:                              ;   in Loop: Header=BB44_21 Depth=2
	s_or_b64 exec, exec, s[28:29]
	s_and_b64 s[24:25], exec, s[24:25]
	s_or_b64 s[22:23], s[24:25], s[22:23]
	s_andn2_b64 exec, exec, s[22:23]
	s_cbranch_execz .LBB44_6
.LBB44_21:                              ;   Parent Loop BB44_7 Depth=1
                                        ; =>  This Loop Header: Depth=2
                                        ;       Child Loop BB44_24 Depth 3
	s_mov_b64 s[24:25], -1
	s_and_b64 vcc, exec, s[2:3]
	s_mov_b64 s[26:27], -1
	s_cbranch_vccnz .LBB44_29
; %bb.22:                               ;   in Loop: Header=BB44_21 Depth=2
	v_ashrrev_i32_e32 v5, 31, v4
	v_lshlrev_b64 v[5:6], 2, v[4:5]
	v_mov_b32_e32 v15, s19
	v_add_co_u32_e32 v5, vcc, s18, v5
	v_addc_co_u32_e32 v6, vcc, v15, v6, vcc
	global_load_dword v5, v[5:6], off
	s_mov_b64 s[28:29], 0
	s_mov_b32 s41, s9
                                        ; implicit-def: $sgpr26_sgpr27
	s_waitcnt vmcnt(0)
	v_subrev_u32_e32 v5, s38, v5
	v_mul_lo_u32 v15, v5, s9
	v_mov_b32_e32 v5, v3
	s_branch .LBB44_24
.LBB44_23:                              ;   in Loop: Header=BB44_24 Depth=3
	s_or_b64 exec, exec, s[36:37]
	s_xor_b64 s[34:35], s[34:35], -1
	s_and_b64 s[30:31], exec, s[30:31]
	s_or_b64 s[28:29], s[30:31], s[28:29]
	s_andn2_b64 s[26:27], s[26:27], exec
	s_and_b64 s[30:31], s[34:35], exec
	s_or_b64 s[26:27], s[26:27], s[30:31]
	s_andn2_b64 exec, exec, s[28:29]
	s_cbranch_execz .LBB44_28
.LBB44_24:                              ;   Parent Loop BB44_7 Depth=1
                                        ;     Parent Loop BB44_21 Depth=2
                                        ; =>    This Inner Loop Header: Depth=3
	v_sub_u32_e32 v6, 0, v15
	v_max_i32_e32 v6, v15, v6
	v_mul_hi_u32 v16, v6, v11
	v_ashrrev_i32_e32 v18, 31, v15
	v_xor_b32_e32 v18, s39, v18
	v_mul_lo_u32 v17, v16, s10
	v_add_u32_e32 v19, 1, v16
	v_sub_u32_e32 v6, v6, v17
	v_cmp_le_u32_e32 vcc, s10, v6
	v_subrev_u32_e32 v17, s10, v6
	v_cndmask_b32_e32 v16, v16, v19, vcc
	v_cndmask_b32_e32 v6, v6, v17, vcc
	v_add_u32_e32 v17, 1, v16
	v_cmp_le_u32_e32 vcc, s10, v6
	v_cndmask_b32_e32 v6, v16, v17, vcc
	v_xor_b32_e32 v6, v6, v18
	v_sub_u32_e32 v16, v6, v18
	v_cmp_eq_u32_e32 vcc, v16, v13
	s_and_saveexec_b64 s[30:31], vcc
	s_cbranch_execz .LBB44_26
; %bb.25:                               ;   in Loop: Header=BB44_24 Depth=3
	v_ashrrev_i32_e32 v6, 31, v5
	v_lshlrev_b64 v[17:18], 4, v[5:6]
	v_mov_b32_e32 v6, s17
	v_add_co_u32_e32 v17, vcc, s16, v17
	v_addc_co_u32_e32 v18, vcc, v6, v18, vcc
	global_load_dwordx4 v[17:20], v[17:18], off
	v_mul_lo_u32 v6, v13, s13
	v_sub_u32_e32 v6, v15, v6
	v_add_u32_e32 v6, v6, v14
	v_mad_u64_u32 v[21:22], s[34:35], v6, s12, v[0:1]
	v_mov_b32_e32 v6, s15
	v_ashrrev_i32_e32 v22, 31, v21
	v_lshlrev_b64 v[21:22], 4, v[21:22]
	v_add_co_u32_e32 v21, vcc, s14, v21
	v_addc_co_u32_e32 v22, vcc, v6, v22, vcc
	s_waitcnt vmcnt(0)
	global_store_dwordx4 v[21:22], v[17:20], off
.LBB44_26:                              ;   in Loop: Header=BB44_24 Depth=3
	s_or_b64 exec, exec, s[30:31]
	v_cmp_le_i32_e32 vcc, v16, v13
	s_mov_b64 s[30:31], -1
	s_mov_b64 s[34:35], -1
	s_and_saveexec_b64 s[36:37], vcc
	s_cbranch_execz .LBB44_23
; %bb.27:                               ;   in Loop: Header=BB44_24 Depth=3
	s_add_i32 s41, s41, -1
	s_cmp_eq_u32 s41, 0
	s_cselect_b64 s[30:31], -1, 0
	v_add_u32_e32 v15, 1, v15
	v_add_u32_e32 v5, s8, v5
	s_xor_b64 s[34:35], exec, -1
	s_orn2_b64 s[30:31], s[30:31], exec
	s_branch .LBB44_23
.LBB44_28:                              ;   in Loop: Header=BB44_21 Depth=2
	s_or_b64 exec, exec, s[28:29]
.LBB44_29:                              ;   in Loop: Header=BB44_21 Depth=2
	s_and_saveexec_b64 s[28:29], s[26:27]
	s_cbranch_execz .LBB44_20
; %bb.30:                               ;   in Loop: Header=BB44_21 Depth=2
	v_add_u32_e32 v4, 1, v4
	v_cmp_ge_i32_e32 vcc, v4, v8
	v_add_u32_e32 v3, s40, v3
	s_orn2_b64 s[24:25], vcc, exec
	s_branch .LBB44_20
.LBB44_31:
	s_endpgm
	.section	.rodata,"a",@progbits
	.p2align	6, 0x0
	.amdhsa_kernel _ZN9rocsparseL23gebsr2gebsr_fast_kernelIL20rocsparse_direction_1ELi16ELi4E21rocsparse_complex_numIdEEEvii21rocsparse_index_base_PKT2_PKiS9_iiiiS4_PS5_PiSB_ii
		.amdhsa_group_segment_fixed_size 0
		.amdhsa_private_segment_fixed_size 0
		.amdhsa_kernarg_size 96
		.amdhsa_user_sgpr_count 6
		.amdhsa_user_sgpr_private_segment_buffer 1
		.amdhsa_user_sgpr_dispatch_ptr 0
		.amdhsa_user_sgpr_queue_ptr 0
		.amdhsa_user_sgpr_kernarg_segment_ptr 1
		.amdhsa_user_sgpr_dispatch_id 0
		.amdhsa_user_sgpr_flat_scratch_init 0
		.amdhsa_user_sgpr_private_segment_size 0
		.amdhsa_uses_dynamic_stack 0
		.amdhsa_system_sgpr_private_segment_wavefront_offset 0
		.amdhsa_system_sgpr_workgroup_id_x 1
		.amdhsa_system_sgpr_workgroup_id_y 0
		.amdhsa_system_sgpr_workgroup_id_z 0
		.amdhsa_system_sgpr_workgroup_info 0
		.amdhsa_system_vgpr_workitem_id 0
		.amdhsa_next_free_vgpr 23
		.amdhsa_next_free_sgpr 42
		.amdhsa_reserve_vcc 1
		.amdhsa_reserve_flat_scratch 0
		.amdhsa_float_round_mode_32 0
		.amdhsa_float_round_mode_16_64 0
		.amdhsa_float_denorm_mode_32 3
		.amdhsa_float_denorm_mode_16_64 3
		.amdhsa_dx10_clamp 1
		.amdhsa_ieee_mode 1
		.amdhsa_fp16_overflow 0
		.amdhsa_exception_fp_ieee_invalid_op 0
		.amdhsa_exception_fp_denorm_src 0
		.amdhsa_exception_fp_ieee_div_zero 0
		.amdhsa_exception_fp_ieee_overflow 0
		.amdhsa_exception_fp_ieee_underflow 0
		.amdhsa_exception_fp_ieee_inexact 0
		.amdhsa_exception_int_div_zero 0
	.end_amdhsa_kernel
	.section	.text._ZN9rocsparseL23gebsr2gebsr_fast_kernelIL20rocsparse_direction_1ELi16ELi4E21rocsparse_complex_numIdEEEvii21rocsparse_index_base_PKT2_PKiS9_iiiiS4_PS5_PiSB_ii,"axG",@progbits,_ZN9rocsparseL23gebsr2gebsr_fast_kernelIL20rocsparse_direction_1ELi16ELi4E21rocsparse_complex_numIdEEEvii21rocsparse_index_base_PKT2_PKiS9_iiiiS4_PS5_PiSB_ii,comdat
.Lfunc_end44:
	.size	_ZN9rocsparseL23gebsr2gebsr_fast_kernelIL20rocsparse_direction_1ELi16ELi4E21rocsparse_complex_numIdEEEvii21rocsparse_index_base_PKT2_PKiS9_iiiiS4_PS5_PiSB_ii, .Lfunc_end44-_ZN9rocsparseL23gebsr2gebsr_fast_kernelIL20rocsparse_direction_1ELi16ELi4E21rocsparse_complex_numIdEEEvii21rocsparse_index_base_PKT2_PKiS9_iiiiS4_PS5_PiSB_ii
                                        ; -- End function
	.set _ZN9rocsparseL23gebsr2gebsr_fast_kernelIL20rocsparse_direction_1ELi16ELi4E21rocsparse_complex_numIdEEEvii21rocsparse_index_base_PKT2_PKiS9_iiiiS4_PS5_PiSB_ii.num_vgpr, 23
	.set _ZN9rocsparseL23gebsr2gebsr_fast_kernelIL20rocsparse_direction_1ELi16ELi4E21rocsparse_complex_numIdEEEvii21rocsparse_index_base_PKT2_PKiS9_iiiiS4_PS5_PiSB_ii.num_agpr, 0
	.set _ZN9rocsparseL23gebsr2gebsr_fast_kernelIL20rocsparse_direction_1ELi16ELi4E21rocsparse_complex_numIdEEEvii21rocsparse_index_base_PKT2_PKiS9_iiiiS4_PS5_PiSB_ii.numbered_sgpr, 42
	.set _ZN9rocsparseL23gebsr2gebsr_fast_kernelIL20rocsparse_direction_1ELi16ELi4E21rocsparse_complex_numIdEEEvii21rocsparse_index_base_PKT2_PKiS9_iiiiS4_PS5_PiSB_ii.num_named_barrier, 0
	.set _ZN9rocsparseL23gebsr2gebsr_fast_kernelIL20rocsparse_direction_1ELi16ELi4E21rocsparse_complex_numIdEEEvii21rocsparse_index_base_PKT2_PKiS9_iiiiS4_PS5_PiSB_ii.private_seg_size, 0
	.set _ZN9rocsparseL23gebsr2gebsr_fast_kernelIL20rocsparse_direction_1ELi16ELi4E21rocsparse_complex_numIdEEEvii21rocsparse_index_base_PKT2_PKiS9_iiiiS4_PS5_PiSB_ii.uses_vcc, 1
	.set _ZN9rocsparseL23gebsr2gebsr_fast_kernelIL20rocsparse_direction_1ELi16ELi4E21rocsparse_complex_numIdEEEvii21rocsparse_index_base_PKT2_PKiS9_iiiiS4_PS5_PiSB_ii.uses_flat_scratch, 0
	.set _ZN9rocsparseL23gebsr2gebsr_fast_kernelIL20rocsparse_direction_1ELi16ELi4E21rocsparse_complex_numIdEEEvii21rocsparse_index_base_PKT2_PKiS9_iiiiS4_PS5_PiSB_ii.has_dyn_sized_stack, 0
	.set _ZN9rocsparseL23gebsr2gebsr_fast_kernelIL20rocsparse_direction_1ELi16ELi4E21rocsparse_complex_numIdEEEvii21rocsparse_index_base_PKT2_PKiS9_iiiiS4_PS5_PiSB_ii.has_recursion, 0
	.set _ZN9rocsparseL23gebsr2gebsr_fast_kernelIL20rocsparse_direction_1ELi16ELi4E21rocsparse_complex_numIdEEEvii21rocsparse_index_base_PKT2_PKiS9_iiiiS4_PS5_PiSB_ii.has_indirect_call, 0
	.section	.AMDGPU.csdata,"",@progbits
; Kernel info:
; codeLenInByte = 1500
; TotalNumSgprs: 46
; NumVgprs: 23
; ScratchSize: 0
; MemoryBound: 0
; FloatMode: 240
; IeeeMode: 1
; LDSByteSize: 0 bytes/workgroup (compile time only)
; SGPRBlocks: 5
; VGPRBlocks: 5
; NumSGPRsForWavesPerEU: 46
; NumVGPRsForWavesPerEU: 23
; Occupancy: 10
; WaveLimiterHint : 0
; COMPUTE_PGM_RSRC2:SCRATCH_EN: 0
; COMPUTE_PGM_RSRC2:USER_SGPR: 6
; COMPUTE_PGM_RSRC2:TRAP_HANDLER: 0
; COMPUTE_PGM_RSRC2:TGID_X_EN: 1
; COMPUTE_PGM_RSRC2:TGID_Y_EN: 0
; COMPUTE_PGM_RSRC2:TGID_Z_EN: 0
; COMPUTE_PGM_RSRC2:TIDIG_COMP_CNT: 0
	.section	.text._ZN9rocsparseL23gebsr2gebsr_fast_kernelIL20rocsparse_direction_1ELi16ELi8E21rocsparse_complex_numIdEEEvii21rocsparse_index_base_PKT2_PKiS9_iiiiS4_PS5_PiSB_ii,"axG",@progbits,_ZN9rocsparseL23gebsr2gebsr_fast_kernelIL20rocsparse_direction_1ELi16ELi8E21rocsparse_complex_numIdEEEvii21rocsparse_index_base_PKT2_PKiS9_iiiiS4_PS5_PiSB_ii,comdat
	.globl	_ZN9rocsparseL23gebsr2gebsr_fast_kernelIL20rocsparse_direction_1ELi16ELi8E21rocsparse_complex_numIdEEEvii21rocsparse_index_base_PKT2_PKiS9_iiiiS4_PS5_PiSB_ii ; -- Begin function _ZN9rocsparseL23gebsr2gebsr_fast_kernelIL20rocsparse_direction_1ELi16ELi8E21rocsparse_complex_numIdEEEvii21rocsparse_index_base_PKT2_PKiS9_iiiiS4_PS5_PiSB_ii
	.p2align	8
	.type	_ZN9rocsparseL23gebsr2gebsr_fast_kernelIL20rocsparse_direction_1ELi16ELi8E21rocsparse_complex_numIdEEEvii21rocsparse_index_base_PKT2_PKiS9_iiiiS4_PS5_PiSB_ii,@function
_ZN9rocsparseL23gebsr2gebsr_fast_kernelIL20rocsparse_direction_1ELi16ELi8E21rocsparse_complex_numIdEEEvii21rocsparse_index_base_PKT2_PKiS9_iiiiS4_PS5_PiSB_ii: ; @_ZN9rocsparseL23gebsr2gebsr_fast_kernelIL20rocsparse_direction_1ELi16ELi8E21rocsparse_complex_numIdEEEvii21rocsparse_index_base_PKT2_PKiS9_iiiiS4_PS5_PiSB_ii
; %bb.0:
	s_load_dwordx4 s[8:11], s[4:5], 0x28
	s_load_dword s33, s[4:5], 0x38
	s_load_dwordx2 s[12:13], s[4:5], 0x58
	v_lshrrev_b32_e32 v4, 3, v0
	s_lshl_b32 s2, s6, 1
	s_waitcnt lgkmcnt(0)
	s_abs_i32 s3, s8
	v_cvt_f32_u32_e32 v1, s3
	s_sub_i32 s0, 0, s3
	v_and_b32_e32 v0, 7, v0
	s_load_dword s6, s[4:5], 0x0
	s_load_dword s38, s[4:5], 0x8
	v_rcp_iflag_f32_e32 v1, v1
	v_cmp_gt_i32_e32 vcc, s12, v0
	v_mov_b32_e32 v7, 0
	v_mov_b32_e32 v8, 0
	v_mul_f32_e32 v1, 0x4f7ffffe, v1
	v_cvt_u32_f32_e32 v5, v1
	v_or_b32_e32 v1, s2, v4
	v_mul_lo_u32 v6, s0, v5
	v_mad_u64_u32 v[2:3], s[0:1], v1, s12, v[0:1]
	v_mul_hi_u32 v3, v5, v6
	v_sub_u32_e32 v6, 0, v2
	v_max_i32_e32 v6, v2, v6
	v_xor_b32_e32 v2, s8, v2
	v_add_u32_e32 v3, v5, v3
	v_mul_hi_u32 v3, v6, v3
	v_ashrrev_i32_e32 v5, 31, v2
	v_mul_lo_u32 v9, v3, s3
	v_add_u32_e32 v2, 1, v3
	v_sub_u32_e32 v6, v6, v9
	v_cmp_le_u32_e64 s[0:1], s3, v6
	v_cndmask_b32_e64 v2, v3, v2, s[0:1]
	v_subrev_u32_e32 v3, s3, v6
	v_cndmask_b32_e64 v3, v6, v3, s[0:1]
	v_add_u32_e32 v6, 1, v2
	v_cmp_le_u32_e64 s[0:1], s3, v3
	v_cndmask_b32_e64 v2, v2, v6, s[0:1]
	v_xor_b32_e32 v6, v2, v5
	v_sub_u32_e32 v2, v6, v5
	s_waitcnt lgkmcnt(0)
	v_cmp_gt_i32_e64 s[0:1], s6, v2
	s_and_b64 s[6:7], vcc, s[0:1]
	v_mov_b32_e32 v9, 0
	s_and_saveexec_b64 s[0:1], s[6:7]
	s_cbranch_execnz .LBB45_3
; %bb.1:
	s_or_b64 exec, exec, s[0:1]
	v_cmp_gt_i32_e32 vcc, s10, v1
	s_and_saveexec_b64 s[0:1], vcc
	s_cbranch_execnz .LBB45_4
.LBB45_2:
	s_or_b64 exec, exec, s[0:1]
	s_cmp_lt_i32 s11, 1
	s_cbranch_scc0 .LBB45_5
	s_branch .LBB45_31
.LBB45_3:
	s_load_dwordx2 s[6:7], s[4:5], 0x18
	v_ashrrev_i32_e32 v3, 31, v2
	v_lshlrev_b64 v[2:3], 2, v[2:3]
	s_waitcnt lgkmcnt(0)
	v_mov_b32_e32 v8, s7
	v_add_co_u32_e32 v2, vcc, s6, v2
	v_addc_co_u32_e32 v3, vcc, v8, v3, vcc
	global_load_dwordx2 v[2:3], v[2:3], off
	s_waitcnt vmcnt(0)
	v_subrev_u32_e32 v9, s38, v2
	v_subrev_u32_e32 v8, s38, v3
	s_or_b64 exec, exec, s[0:1]
	v_cmp_gt_i32_e32 vcc, s10, v1
	s_and_saveexec_b64 s[0:1], vcc
	s_cbranch_execz .LBB45_2
.LBB45_4:
	s_load_dwordx2 s[6:7], s[4:5], 0x48
	v_ashrrev_i32_e32 v2, 31, v1
	v_lshlrev_b64 v[1:2], 2, v[1:2]
	s_waitcnt lgkmcnt(0)
	v_mov_b32_e32 v3, s7
	v_add_co_u32_e32 v1, vcc, s6, v1
	v_addc_co_u32_e32 v2, vcc, v3, v2, vcc
	global_load_dword v1, v[1:2], off
	s_waitcnt vmcnt(0)
	v_subrev_u32_e32 v7, s33, v1
	s_or_b64 exec, exec, s[0:1]
	s_cmp_lt_i32 s11, 1
	s_cbranch_scc1 .LBB45_31
.LBB45_5:
	s_cmp_gt_i32 s9, 0
	s_cselect_b64 s[20:21], -1, 0
	s_abs_i32 s10, s13
	v_cvt_f32_u32_e32 v1, s10
	v_add_u32_e32 v3, s2, v4
	s_sub_i32 s2, 0, s10
	s_load_dwordx2 s[6:7], s[4:5], 0x50
	s_load_dwordx2 s[14:15], s[4:5], 0x40
	;; [unrolled: 1-line block ×4, first 2 shown]
	v_rcp_iflag_f32_e32 v1, v1
	v_mbcnt_lo_u32_b32 v2, -1, 0
	v_cmp_eq_u32_e64 s[0:1], 7, v0
	s_ashr_i32 s39, s13, 31
	v_mul_f32_e32 v1, 0x4f7ffffe, v1
	v_cvt_u32_f32_e32 v11, v1
	v_sub_u32_e32 v1, v5, v6
	v_mbcnt_hi_u32_b32 v5, -1, v2
	v_lshl_or_b32 v10, v5, 2, 28
	v_mul_lo_u32 v4, s2, v11
	v_mad_u64_u32 v[2:3], s[2:3], s12, v3, v[0:1]
	v_cndmask_b32_e64 v3, 0, 1, s[20:21]
	v_mul_hi_u32 v4, v11, v4
	s_mul_i32 s40, s9, s8
	v_mov_b32_e32 v5, 0
	s_mov_b64 s[4:5], 0
	v_add_u32_e32 v11, v11, v4
	v_cmp_ne_u32_e64 s[2:3], 1, v3
	v_mov_b32_e32 v12, 0
	s_branch .LBB45_7
.LBB45_6:                               ;   in Loop: Header=BB45_7 Depth=1
	s_or_b64 exec, exec, s[20:21]
	s_waitcnt lgkmcnt(0)
	v_add_u32_e32 v5, 1, v13
	v_cmp_le_i32_e32 vcc, s11, v5
	s_or_b64 s[4:5], vcc, s[4:5]
	s_andn2_b64 exec, exec, s[4:5]
	s_cbranch_execz .LBB45_31
.LBB45_7:                               ; =>This Loop Header: Depth=1
                                        ;     Child Loop BB45_11 Depth 2
                                        ;       Child Loop BB45_13 Depth 3
                                        ;     Child Loop BB45_21 Depth 2
                                        ;       Child Loop BB45_24 Depth 3
	v_cmp_lt_i32_e32 vcc, v9, v8
	v_mov_b32_e32 v6, s11
	s_and_saveexec_b64 s[20:21], vcc
	s_cbranch_execz .LBB45_16
; %bb.8:                                ;   in Loop: Header=BB45_7 Depth=1
	s_mov_b64 s[22:23], 0
	v_mov_b32_e32 v6, s11
	v_mov_b32_e32 v3, v9
	s_branch .LBB45_11
.LBB45_9:                               ;   in Loop: Header=BB45_11 Depth=2
	s_mov_b64 s[24:25], 0
.LBB45_10:                              ;   in Loop: Header=BB45_11 Depth=2
	v_add_u32_e32 v3, 1, v3
	v_cmp_ge_i32_e32 vcc, v3, v8
	s_or_b64 s[24:25], s[24:25], vcc
	s_and_b64 s[24:25], exec, s[24:25]
	s_or_b64 s[22:23], s[24:25], s[22:23]
	s_andn2_b64 exec, exec, s[22:23]
	s_cbranch_execz .LBB45_15
.LBB45_11:                              ;   Parent Loop BB45_7 Depth=1
                                        ; =>  This Loop Header: Depth=2
                                        ;       Child Loop BB45_13 Depth 3
	s_and_b64 vcc, exec, s[2:3]
	s_cbranch_vccnz .LBB45_9
; %bb.12:                               ;   in Loop: Header=BB45_11 Depth=2
	v_ashrrev_i32_e32 v4, 31, v3
	v_lshlrev_b64 v[13:14], 2, v[3:4]
	s_waitcnt lgkmcnt(0)
	v_mov_b32_e32 v4, s19
	v_add_co_u32_e32 v13, vcc, s18, v13
	v_addc_co_u32_e32 v14, vcc, v4, v14, vcc
	global_load_dword v4, v[13:14], off
	s_mov_b32 s30, 0
	s_mov_b64 s[28:29], 0
	s_mov_b64 s[26:27], 0
                                        ; implicit-def: $sgpr24_sgpr25
	s_waitcnt vmcnt(0)
	v_subrev_u32_e32 v4, s38, v4
	v_mul_lo_u32 v4, v4, s9
.LBB45_13:                              ;   Parent Loop BB45_7 Depth=1
                                        ;     Parent Loop BB45_11 Depth=2
                                        ; =>    This Inner Loop Header: Depth=3
	v_add_u32_e32 v13, s30, v4
	v_sub_u32_e32 v15, 0, v13
	v_ashrrev_i32_e32 v14, 31, v13
	v_max_i32_e32 v13, v13, v15
	v_mul_hi_u32 v15, v13, v11
	v_xor_b32_e32 v14, s39, v14
	s_add_i32 s30, s30, 1
	v_mul_lo_u32 v16, v15, s10
	v_add_u32_e32 v17, 1, v15
	v_sub_u32_e32 v13, v13, v16
	v_cmp_le_u32_e32 vcc, s10, v13
	v_subrev_u32_e32 v16, s10, v13
	v_cndmask_b32_e32 v15, v15, v17, vcc
	v_cndmask_b32_e32 v13, v13, v16, vcc
	v_add_u32_e32 v16, 1, v15
	v_cmp_le_u32_e32 vcc, s10, v13
	v_cndmask_b32_e32 v13, v15, v16, vcc
	v_xor_b32_e32 v13, v13, v14
	v_sub_u32_e32 v13, v13, v14
	v_cmp_ge_i32_e32 vcc, v13, v5
	s_or_b64 s[28:29], vcc, s[28:29]
	s_cmp_ge_i32 s30, s9
	s_cselect_b64 s[34:35], -1, 0
	s_or_b64 s[34:35], vcc, s[34:35]
	s_and_b64 s[34:35], exec, s[34:35]
	s_or_b64 s[26:27], s[34:35], s[26:27]
	s_andn2_b64 s[24:25], s[24:25], exec
	s_and_b64 s[34:35], s[28:29], exec
	v_cndmask_b32_e32 v6, v6, v13, vcc
	v_cndmask_b32_e32 v9, v9, v3, vcc
	s_or_b64 s[24:25], s[24:25], s[34:35]
	s_andn2_b64 exec, exec, s[26:27]
	s_cbranch_execnz .LBB45_13
; %bb.14:                               ;   in Loop: Header=BB45_11 Depth=2
	s_or_b64 exec, exec, s[26:27]
	s_branch .LBB45_10
.LBB45_15:                              ;   in Loop: Header=BB45_7 Depth=1
	s_or_b64 exec, exec, s[22:23]
.LBB45_16:                              ;   in Loop: Header=BB45_7 Depth=1
	s_or_b64 exec, exec, s[20:21]
	v_mov_b32_dpp v3, v6 row_shr:1 row_mask:0xf bank_mask:0xf
	v_min_i32_e32 v3, v3, v6
	s_nop 1
	v_mov_b32_dpp v4, v3 row_shr:2 row_mask:0xf bank_mask:0xf
	v_min_i32_e32 v3, v4, v3
	s_nop 1
	v_mov_b32_dpp v4, v3 row_shr:4 row_mask:0xf bank_mask:0xe
	v_min_i32_e32 v3, v4, v3
	v_cmp_gt_i32_e32 vcc, s11, v3
	s_and_b64 s[22:23], s[0:1], vcc
	s_and_saveexec_b64 s[20:21], s[22:23]
	s_cbranch_execz .LBB45_18
; %bb.17:                               ;   in Loop: Header=BB45_7 Depth=1
	v_add_u32_e32 v4, v12, v7
	v_ashrrev_i32_e32 v5, 31, v4
	v_lshlrev_b64 v[4:5], 2, v[4:5]
	v_add_u32_e32 v6, 1, v12
	s_waitcnt lgkmcnt(0)
	v_mov_b32_e32 v12, s7
	v_add_co_u32_e32 v4, vcc, s6, v4
	v_addc_co_u32_e32 v5, vcc, v12, v5, vcc
	v_add_u32_e32 v12, s33, v3
	global_store_dword v[4:5], v12, off
	v_mov_b32_e32 v12, v6
.LBB45_18:                              ;   in Loop: Header=BB45_7 Depth=1
	s_or_b64 exec, exec, s[20:21]
	ds_bpermute_b32 v13, v10, v3
	ds_bpermute_b32 v12, v10, v12
	v_cmp_lt_i32_e32 vcc, v9, v8
	s_and_saveexec_b64 s[20:21], vcc
	s_cbranch_execz .LBB45_6
; %bb.19:                               ;   in Loop: Header=BB45_7 Depth=1
	v_mad_u64_u32 v[3:4], s[22:23], s9, v9, v[1:2]
	v_add_u32_e32 v5, -1, v7
	s_waitcnt lgkmcnt(0)
	v_add_u32_e32 v4, v5, v12
	v_mul_lo_u32 v14, v4, s13
	v_mad_u64_u32 v[3:4], s[22:23], s8, v3, v[2:3]
	s_mov_b64 s[22:23], 0
	v_mov_b32_e32 v4, v9
	s_branch .LBB45_21
.LBB45_20:                              ;   in Loop: Header=BB45_21 Depth=2
	s_or_b64 exec, exec, s[28:29]
	s_and_b64 s[24:25], exec, s[24:25]
	s_or_b64 s[22:23], s[24:25], s[22:23]
	s_andn2_b64 exec, exec, s[22:23]
	s_cbranch_execz .LBB45_6
.LBB45_21:                              ;   Parent Loop BB45_7 Depth=1
                                        ; =>  This Loop Header: Depth=2
                                        ;       Child Loop BB45_24 Depth 3
	s_mov_b64 s[24:25], -1
	s_and_b64 vcc, exec, s[2:3]
	s_mov_b64 s[26:27], -1
	s_cbranch_vccnz .LBB45_29
; %bb.22:                               ;   in Loop: Header=BB45_21 Depth=2
	v_ashrrev_i32_e32 v5, 31, v4
	v_lshlrev_b64 v[5:6], 2, v[4:5]
	v_mov_b32_e32 v15, s19
	v_add_co_u32_e32 v5, vcc, s18, v5
	v_addc_co_u32_e32 v6, vcc, v15, v6, vcc
	global_load_dword v5, v[5:6], off
	s_mov_b64 s[28:29], 0
	s_mov_b32 s41, s9
                                        ; implicit-def: $sgpr26_sgpr27
	s_waitcnt vmcnt(0)
	v_subrev_u32_e32 v5, s38, v5
	v_mul_lo_u32 v15, v5, s9
	v_mov_b32_e32 v5, v3
	s_branch .LBB45_24
.LBB45_23:                              ;   in Loop: Header=BB45_24 Depth=3
	s_or_b64 exec, exec, s[36:37]
	s_xor_b64 s[34:35], s[34:35], -1
	s_and_b64 s[30:31], exec, s[30:31]
	s_or_b64 s[28:29], s[30:31], s[28:29]
	s_andn2_b64 s[26:27], s[26:27], exec
	s_and_b64 s[30:31], s[34:35], exec
	s_or_b64 s[26:27], s[26:27], s[30:31]
	s_andn2_b64 exec, exec, s[28:29]
	s_cbranch_execz .LBB45_28
.LBB45_24:                              ;   Parent Loop BB45_7 Depth=1
                                        ;     Parent Loop BB45_21 Depth=2
                                        ; =>    This Inner Loop Header: Depth=3
	v_sub_u32_e32 v6, 0, v15
	v_max_i32_e32 v6, v15, v6
	v_mul_hi_u32 v16, v6, v11
	v_ashrrev_i32_e32 v18, 31, v15
	v_xor_b32_e32 v18, s39, v18
	v_mul_lo_u32 v17, v16, s10
	v_add_u32_e32 v19, 1, v16
	v_sub_u32_e32 v6, v6, v17
	v_cmp_le_u32_e32 vcc, s10, v6
	v_subrev_u32_e32 v17, s10, v6
	v_cndmask_b32_e32 v16, v16, v19, vcc
	v_cndmask_b32_e32 v6, v6, v17, vcc
	v_add_u32_e32 v17, 1, v16
	v_cmp_le_u32_e32 vcc, s10, v6
	v_cndmask_b32_e32 v6, v16, v17, vcc
	v_xor_b32_e32 v6, v6, v18
	v_sub_u32_e32 v16, v6, v18
	v_cmp_eq_u32_e32 vcc, v16, v13
	s_and_saveexec_b64 s[30:31], vcc
	s_cbranch_execz .LBB45_26
; %bb.25:                               ;   in Loop: Header=BB45_24 Depth=3
	v_ashrrev_i32_e32 v6, 31, v5
	v_lshlrev_b64 v[17:18], 4, v[5:6]
	v_mov_b32_e32 v6, s17
	v_add_co_u32_e32 v17, vcc, s16, v17
	v_addc_co_u32_e32 v18, vcc, v6, v18, vcc
	global_load_dwordx4 v[17:20], v[17:18], off
	v_mul_lo_u32 v6, v13, s13
	v_sub_u32_e32 v6, v15, v6
	v_add_u32_e32 v6, v6, v14
	v_mad_u64_u32 v[21:22], s[34:35], v6, s12, v[0:1]
	v_mov_b32_e32 v6, s15
	v_ashrrev_i32_e32 v22, 31, v21
	v_lshlrev_b64 v[21:22], 4, v[21:22]
	v_add_co_u32_e32 v21, vcc, s14, v21
	v_addc_co_u32_e32 v22, vcc, v6, v22, vcc
	s_waitcnt vmcnt(0)
	global_store_dwordx4 v[21:22], v[17:20], off
.LBB45_26:                              ;   in Loop: Header=BB45_24 Depth=3
	s_or_b64 exec, exec, s[30:31]
	v_cmp_le_i32_e32 vcc, v16, v13
	s_mov_b64 s[30:31], -1
	s_mov_b64 s[34:35], -1
	s_and_saveexec_b64 s[36:37], vcc
	s_cbranch_execz .LBB45_23
; %bb.27:                               ;   in Loop: Header=BB45_24 Depth=3
	s_add_i32 s41, s41, -1
	s_cmp_eq_u32 s41, 0
	s_cselect_b64 s[30:31], -1, 0
	v_add_u32_e32 v15, 1, v15
	v_add_u32_e32 v5, s8, v5
	s_xor_b64 s[34:35], exec, -1
	s_orn2_b64 s[30:31], s[30:31], exec
	s_branch .LBB45_23
.LBB45_28:                              ;   in Loop: Header=BB45_21 Depth=2
	s_or_b64 exec, exec, s[28:29]
.LBB45_29:                              ;   in Loop: Header=BB45_21 Depth=2
	s_and_saveexec_b64 s[28:29], s[26:27]
	s_cbranch_execz .LBB45_20
; %bb.30:                               ;   in Loop: Header=BB45_21 Depth=2
	v_add_u32_e32 v4, 1, v4
	v_cmp_ge_i32_e32 vcc, v4, v8
	v_add_u32_e32 v3, s40, v3
	s_orn2_b64 s[24:25], vcc, exec
	s_branch .LBB45_20
.LBB45_31:
	s_endpgm
	.section	.rodata,"a",@progbits
	.p2align	6, 0x0
	.amdhsa_kernel _ZN9rocsparseL23gebsr2gebsr_fast_kernelIL20rocsparse_direction_1ELi16ELi8E21rocsparse_complex_numIdEEEvii21rocsparse_index_base_PKT2_PKiS9_iiiiS4_PS5_PiSB_ii
		.amdhsa_group_segment_fixed_size 0
		.amdhsa_private_segment_fixed_size 0
		.amdhsa_kernarg_size 96
		.amdhsa_user_sgpr_count 6
		.amdhsa_user_sgpr_private_segment_buffer 1
		.amdhsa_user_sgpr_dispatch_ptr 0
		.amdhsa_user_sgpr_queue_ptr 0
		.amdhsa_user_sgpr_kernarg_segment_ptr 1
		.amdhsa_user_sgpr_dispatch_id 0
		.amdhsa_user_sgpr_flat_scratch_init 0
		.amdhsa_user_sgpr_private_segment_size 0
		.amdhsa_uses_dynamic_stack 0
		.amdhsa_system_sgpr_private_segment_wavefront_offset 0
		.amdhsa_system_sgpr_workgroup_id_x 1
		.amdhsa_system_sgpr_workgroup_id_y 0
		.amdhsa_system_sgpr_workgroup_id_z 0
		.amdhsa_system_sgpr_workgroup_info 0
		.amdhsa_system_vgpr_workitem_id 0
		.amdhsa_next_free_vgpr 23
		.amdhsa_next_free_sgpr 42
		.amdhsa_reserve_vcc 1
		.amdhsa_reserve_flat_scratch 0
		.amdhsa_float_round_mode_32 0
		.amdhsa_float_round_mode_16_64 0
		.amdhsa_float_denorm_mode_32 3
		.amdhsa_float_denorm_mode_16_64 3
		.amdhsa_dx10_clamp 1
		.amdhsa_ieee_mode 1
		.amdhsa_fp16_overflow 0
		.amdhsa_exception_fp_ieee_invalid_op 0
		.amdhsa_exception_fp_denorm_src 0
		.amdhsa_exception_fp_ieee_div_zero 0
		.amdhsa_exception_fp_ieee_overflow 0
		.amdhsa_exception_fp_ieee_underflow 0
		.amdhsa_exception_fp_ieee_inexact 0
		.amdhsa_exception_int_div_zero 0
	.end_amdhsa_kernel
	.section	.text._ZN9rocsparseL23gebsr2gebsr_fast_kernelIL20rocsparse_direction_1ELi16ELi8E21rocsparse_complex_numIdEEEvii21rocsparse_index_base_PKT2_PKiS9_iiiiS4_PS5_PiSB_ii,"axG",@progbits,_ZN9rocsparseL23gebsr2gebsr_fast_kernelIL20rocsparse_direction_1ELi16ELi8E21rocsparse_complex_numIdEEEvii21rocsparse_index_base_PKT2_PKiS9_iiiiS4_PS5_PiSB_ii,comdat
.Lfunc_end45:
	.size	_ZN9rocsparseL23gebsr2gebsr_fast_kernelIL20rocsparse_direction_1ELi16ELi8E21rocsparse_complex_numIdEEEvii21rocsparse_index_base_PKT2_PKiS9_iiiiS4_PS5_PiSB_ii, .Lfunc_end45-_ZN9rocsparseL23gebsr2gebsr_fast_kernelIL20rocsparse_direction_1ELi16ELi8E21rocsparse_complex_numIdEEEvii21rocsparse_index_base_PKT2_PKiS9_iiiiS4_PS5_PiSB_ii
                                        ; -- End function
	.set _ZN9rocsparseL23gebsr2gebsr_fast_kernelIL20rocsparse_direction_1ELi16ELi8E21rocsparse_complex_numIdEEEvii21rocsparse_index_base_PKT2_PKiS9_iiiiS4_PS5_PiSB_ii.num_vgpr, 23
	.set _ZN9rocsparseL23gebsr2gebsr_fast_kernelIL20rocsparse_direction_1ELi16ELi8E21rocsparse_complex_numIdEEEvii21rocsparse_index_base_PKT2_PKiS9_iiiiS4_PS5_PiSB_ii.num_agpr, 0
	.set _ZN9rocsparseL23gebsr2gebsr_fast_kernelIL20rocsparse_direction_1ELi16ELi8E21rocsparse_complex_numIdEEEvii21rocsparse_index_base_PKT2_PKiS9_iiiiS4_PS5_PiSB_ii.numbered_sgpr, 42
	.set _ZN9rocsparseL23gebsr2gebsr_fast_kernelIL20rocsparse_direction_1ELi16ELi8E21rocsparse_complex_numIdEEEvii21rocsparse_index_base_PKT2_PKiS9_iiiiS4_PS5_PiSB_ii.num_named_barrier, 0
	.set _ZN9rocsparseL23gebsr2gebsr_fast_kernelIL20rocsparse_direction_1ELi16ELi8E21rocsparse_complex_numIdEEEvii21rocsparse_index_base_PKT2_PKiS9_iiiiS4_PS5_PiSB_ii.private_seg_size, 0
	.set _ZN9rocsparseL23gebsr2gebsr_fast_kernelIL20rocsparse_direction_1ELi16ELi8E21rocsparse_complex_numIdEEEvii21rocsparse_index_base_PKT2_PKiS9_iiiiS4_PS5_PiSB_ii.uses_vcc, 1
	.set _ZN9rocsparseL23gebsr2gebsr_fast_kernelIL20rocsparse_direction_1ELi16ELi8E21rocsparse_complex_numIdEEEvii21rocsparse_index_base_PKT2_PKiS9_iiiiS4_PS5_PiSB_ii.uses_flat_scratch, 0
	.set _ZN9rocsparseL23gebsr2gebsr_fast_kernelIL20rocsparse_direction_1ELi16ELi8E21rocsparse_complex_numIdEEEvii21rocsparse_index_base_PKT2_PKiS9_iiiiS4_PS5_PiSB_ii.has_dyn_sized_stack, 0
	.set _ZN9rocsparseL23gebsr2gebsr_fast_kernelIL20rocsparse_direction_1ELi16ELi8E21rocsparse_complex_numIdEEEvii21rocsparse_index_base_PKT2_PKiS9_iiiiS4_PS5_PiSB_ii.has_recursion, 0
	.set _ZN9rocsparseL23gebsr2gebsr_fast_kernelIL20rocsparse_direction_1ELi16ELi8E21rocsparse_complex_numIdEEEvii21rocsparse_index_base_PKT2_PKiS9_iiiiS4_PS5_PiSB_ii.has_indirect_call, 0
	.section	.AMDGPU.csdata,"",@progbits
; Kernel info:
; codeLenInByte = 1516
; TotalNumSgprs: 46
; NumVgprs: 23
; ScratchSize: 0
; MemoryBound: 0
; FloatMode: 240
; IeeeMode: 1
; LDSByteSize: 0 bytes/workgroup (compile time only)
; SGPRBlocks: 5
; VGPRBlocks: 5
; NumSGPRsForWavesPerEU: 46
; NumVGPRsForWavesPerEU: 23
; Occupancy: 10
; WaveLimiterHint : 0
; COMPUTE_PGM_RSRC2:SCRATCH_EN: 0
; COMPUTE_PGM_RSRC2:USER_SGPR: 6
; COMPUTE_PGM_RSRC2:TRAP_HANDLER: 0
; COMPUTE_PGM_RSRC2:TGID_X_EN: 1
; COMPUTE_PGM_RSRC2:TGID_Y_EN: 0
; COMPUTE_PGM_RSRC2:TGID_Z_EN: 0
; COMPUTE_PGM_RSRC2:TIDIG_COMP_CNT: 0
	.section	.text._ZN9rocsparseL23gebsr2gebsr_fast_kernelIL20rocsparse_direction_1ELi16ELi16E21rocsparse_complex_numIdEEEvii21rocsparse_index_base_PKT2_PKiS9_iiiiS4_PS5_PiSB_ii,"axG",@progbits,_ZN9rocsparseL23gebsr2gebsr_fast_kernelIL20rocsparse_direction_1ELi16ELi16E21rocsparse_complex_numIdEEEvii21rocsparse_index_base_PKT2_PKiS9_iiiiS4_PS5_PiSB_ii,comdat
	.globl	_ZN9rocsparseL23gebsr2gebsr_fast_kernelIL20rocsparse_direction_1ELi16ELi16E21rocsparse_complex_numIdEEEvii21rocsparse_index_base_PKT2_PKiS9_iiiiS4_PS5_PiSB_ii ; -- Begin function _ZN9rocsparseL23gebsr2gebsr_fast_kernelIL20rocsparse_direction_1ELi16ELi16E21rocsparse_complex_numIdEEEvii21rocsparse_index_base_PKT2_PKiS9_iiiiS4_PS5_PiSB_ii
	.p2align	8
	.type	_ZN9rocsparseL23gebsr2gebsr_fast_kernelIL20rocsparse_direction_1ELi16ELi16E21rocsparse_complex_numIdEEEvii21rocsparse_index_base_PKT2_PKiS9_iiiiS4_PS5_PiSB_ii,@function
_ZN9rocsparseL23gebsr2gebsr_fast_kernelIL20rocsparse_direction_1ELi16ELi16E21rocsparse_complex_numIdEEEvii21rocsparse_index_base_PKT2_PKiS9_iiiiS4_PS5_PiSB_ii: ; @_ZN9rocsparseL23gebsr2gebsr_fast_kernelIL20rocsparse_direction_1ELi16ELi16E21rocsparse_complex_numIdEEEvii21rocsparse_index_base_PKT2_PKiS9_iiiiS4_PS5_PiSB_ii
; %bb.0:
	s_load_dwordx4 s[8:11], s[4:5], 0x28
	s_load_dword s33, s[4:5], 0x38
	s_load_dwordx2 s[12:13], s[4:5], 0x58
	s_load_dword s3, s[4:5], 0x0
	s_load_dword s38, s[4:5], 0x8
	s_mov_b32 s39, 0
	s_waitcnt lgkmcnt(0)
	s_abs_i32 s2, s8
	v_cvt_f32_u32_e32 v1, s2
	s_sub_i32 s0, 0, s2
	v_cmp_gt_i32_e32 vcc, s12, v0
	v_mov_b32_e32 v7, 0
	v_rcp_iflag_f32_e32 v1, v1
	v_mov_b32_e32 v8, 0
	v_mul_f32_e32 v1, 0x4f7ffffe, v1
	v_cvt_u32_f32_e32 v2, v1
	v_mul_lo_u32 v1, s0, v2
	s_mul_i32 s0, s12, s6
	v_mul_hi_u32 v3, v2, v1
	v_add_u32_e32 v1, s0, v0
	v_sub_u32_e32 v4, 0, v1
	v_max_i32_e32 v5, v1, v4
	v_add_u32_e32 v2, v2, v3
	v_mul_hi_u32 v2, v5, v2
	v_xor_b32_e32 v4, s8, v1
	v_ashrrev_i32_e32 v4, 31, v4
	v_mul_lo_u32 v3, v2, s2
	v_add_u32_e32 v6, 1, v2
	v_sub_u32_e32 v3, v5, v3
	v_cmp_le_u32_e64 s[0:1], s2, v3
	v_subrev_u32_e32 v5, s2, v3
	v_cndmask_b32_e64 v2, v2, v6, s[0:1]
	v_cndmask_b32_e64 v3, v3, v5, s[0:1]
	v_add_u32_e32 v5, 1, v2
	v_cmp_le_u32_e64 s[0:1], s2, v3
	v_cndmask_b32_e64 v2, v2, v5, s[0:1]
	v_xor_b32_e32 v5, v2, v4
	v_sub_u32_e32 v2, v5, v4
	v_cmp_gt_i32_e64 s[0:1], s3, v2
	s_and_b64 s[2:3], vcc, s[0:1]
	s_and_saveexec_b64 s[0:1], s[2:3]
	s_cbranch_execnz .LBB46_3
; %bb.1:
	s_or_b64 exec, exec, s[0:1]
	s_cmp_ge_i32 s6, s10
	s_cbranch_scc0 .LBB46_4
.LBB46_2:
	s_cmp_lt_i32 s11, 1
	s_cbranch_scc0 .LBB46_5
	s_branch .LBB46_31
.LBB46_3:
	s_load_dwordx2 s[2:3], s[4:5], 0x18
	v_ashrrev_i32_e32 v3, 31, v2
	v_lshlrev_b64 v[2:3], 2, v[2:3]
	s_waitcnt lgkmcnt(0)
	v_mov_b32_e32 v6, s3
	v_add_co_u32_e32 v2, vcc, s2, v2
	v_addc_co_u32_e32 v3, vcc, v6, v3, vcc
	global_load_dwordx2 v[2:3], v[2:3], off
	s_waitcnt vmcnt(0)
	v_subrev_u32_e32 v8, s38, v2
	v_subrev_u32_e32 v7, s38, v3
	s_or_b64 exec, exec, s[0:1]
	s_cmp_ge_i32 s6, s10
	s_cbranch_scc1 .LBB46_2
.LBB46_4:
	s_load_dwordx2 s[0:1], s[4:5], 0x48
	s_ashr_i32 s7, s6, 31
	s_lshl_b64 s[2:3], s[6:7], 2
	s_waitcnt lgkmcnt(0)
	s_add_u32 s0, s0, s2
	s_addc_u32 s1, s1, s3
	s_load_dword s0, s[0:1], 0x0
	s_waitcnt lgkmcnt(0)
	s_sub_i32 s39, s0, s33
	s_cmp_lt_i32 s11, 1
	s_cbranch_scc1 .LBB46_31
.LBB46_5:
	s_cmp_gt_i32 s9, 0
	s_cselect_b64 s[2:3], -1, 0
	s_abs_i32 s10, s13
	v_cvt_f32_u32_e32 v2, s10
	s_load_dwordx2 s[6:7], s[4:5], 0x50
	s_load_dwordx2 s[14:15], s[4:5], 0x40
	s_load_dwordx2 s[16:17], s[4:5], 0x10
	s_load_dwordx2 s[18:19], s[4:5], 0x20
	s_sub_i32 s4, 0, s10
	v_mbcnt_lo_u32_b32 v6, -1, 0
	v_rcp_iflag_f32_e32 v2, v2
	v_mbcnt_hi_u32_b32 v6, -1, v6
	v_cmp_eq_u32_e64 s[0:1], 15, v0
	s_mul_i32 s40, s9, s8
	v_mul_f32_e32 v2, 0x4f7ffffe, v2
	v_cvt_u32_f32_e32 v3, v2
	v_sub_u32_e32 v2, v4, v5
	v_mov_b32_e32 v5, 0
	s_add_i32 s41, s39, -1
	v_mul_lo_u32 v4, s4, v3
	s_ashr_i32 s42, s13, 31
	v_lshl_or_b32 v9, v6, 2, 60
	s_mov_b64 s[4:5], 0
	v_mul_hi_u32 v4, v3, v4
	v_mov_b32_e32 v11, 0
	v_add_u32_e32 v10, v3, v4
	v_cndmask_b32_e64 v3, 0, 1, s[2:3]
	v_cmp_ne_u32_e64 s[2:3], 1, v3
	s_branch .LBB46_7
.LBB46_6:                               ;   in Loop: Header=BB46_7 Depth=1
	s_or_b64 exec, exec, s[20:21]
	s_waitcnt lgkmcnt(0)
	v_add_u32_e32 v5, 1, v12
	v_cmp_le_i32_e32 vcc, s11, v5
	s_or_b64 s[4:5], vcc, s[4:5]
	s_andn2_b64 exec, exec, s[4:5]
	s_cbranch_execz .LBB46_31
.LBB46_7:                               ; =>This Loop Header: Depth=1
                                        ;     Child Loop BB46_11 Depth 2
                                        ;       Child Loop BB46_13 Depth 3
                                        ;     Child Loop BB46_21 Depth 2
                                        ;       Child Loop BB46_24 Depth 3
	v_cmp_lt_i32_e32 vcc, v8, v7
	v_mov_b32_e32 v6, s11
	s_and_saveexec_b64 s[20:21], vcc
	s_cbranch_execz .LBB46_16
; %bb.8:                                ;   in Loop: Header=BB46_7 Depth=1
	s_mov_b64 s[22:23], 0
	v_mov_b32_e32 v6, s11
	v_mov_b32_e32 v3, v8
	s_branch .LBB46_11
.LBB46_9:                               ;   in Loop: Header=BB46_11 Depth=2
	s_mov_b64 s[24:25], 0
.LBB46_10:                              ;   in Loop: Header=BB46_11 Depth=2
	v_add_u32_e32 v3, 1, v3
	v_cmp_ge_i32_e32 vcc, v3, v7
	s_or_b64 s[24:25], s[24:25], vcc
	s_and_b64 s[24:25], exec, s[24:25]
	s_or_b64 s[22:23], s[24:25], s[22:23]
	s_andn2_b64 exec, exec, s[22:23]
	s_cbranch_execz .LBB46_15
.LBB46_11:                              ;   Parent Loop BB46_7 Depth=1
                                        ; =>  This Loop Header: Depth=2
                                        ;       Child Loop BB46_13 Depth 3
	s_and_b64 vcc, exec, s[2:3]
	s_cbranch_vccnz .LBB46_9
; %bb.12:                               ;   in Loop: Header=BB46_11 Depth=2
	v_ashrrev_i32_e32 v4, 31, v3
	v_lshlrev_b64 v[12:13], 2, v[3:4]
	s_waitcnt lgkmcnt(0)
	v_mov_b32_e32 v4, s19
	v_add_co_u32_e32 v12, vcc, s18, v12
	v_addc_co_u32_e32 v13, vcc, v4, v13, vcc
	global_load_dword v4, v[12:13], off
	s_mov_b32 s30, 0
	s_mov_b64 s[28:29], 0
	s_mov_b64 s[26:27], 0
                                        ; implicit-def: $sgpr24_sgpr25
	s_waitcnt vmcnt(0)
	v_subrev_u32_e32 v4, s38, v4
	v_mul_lo_u32 v4, v4, s9
.LBB46_13:                              ;   Parent Loop BB46_7 Depth=1
                                        ;     Parent Loop BB46_11 Depth=2
                                        ; =>    This Inner Loop Header: Depth=3
	v_add_u32_e32 v12, s30, v4
	v_sub_u32_e32 v14, 0, v12
	v_ashrrev_i32_e32 v13, 31, v12
	v_max_i32_e32 v12, v12, v14
	v_mul_hi_u32 v14, v12, v10
	v_xor_b32_e32 v13, s42, v13
	s_add_i32 s30, s30, 1
	v_mul_lo_u32 v15, v14, s10
	v_add_u32_e32 v16, 1, v14
	v_sub_u32_e32 v12, v12, v15
	v_cmp_le_u32_e32 vcc, s10, v12
	v_subrev_u32_e32 v15, s10, v12
	v_cndmask_b32_e32 v14, v14, v16, vcc
	v_cndmask_b32_e32 v12, v12, v15, vcc
	v_add_u32_e32 v15, 1, v14
	v_cmp_le_u32_e32 vcc, s10, v12
	v_cndmask_b32_e32 v12, v14, v15, vcc
	v_xor_b32_e32 v12, v12, v13
	v_sub_u32_e32 v12, v12, v13
	v_cmp_ge_i32_e32 vcc, v12, v5
	s_or_b64 s[28:29], vcc, s[28:29]
	s_cmp_ge_i32 s30, s9
	s_cselect_b64 s[34:35], -1, 0
	s_or_b64 s[34:35], vcc, s[34:35]
	s_and_b64 s[34:35], exec, s[34:35]
	s_or_b64 s[26:27], s[34:35], s[26:27]
	s_andn2_b64 s[24:25], s[24:25], exec
	s_and_b64 s[34:35], s[28:29], exec
	v_cndmask_b32_e32 v6, v6, v12, vcc
	v_cndmask_b32_e32 v8, v8, v3, vcc
	s_or_b64 s[24:25], s[24:25], s[34:35]
	s_andn2_b64 exec, exec, s[26:27]
	s_cbranch_execnz .LBB46_13
; %bb.14:                               ;   in Loop: Header=BB46_11 Depth=2
	s_or_b64 exec, exec, s[26:27]
	s_branch .LBB46_10
.LBB46_15:                              ;   in Loop: Header=BB46_7 Depth=1
	s_or_b64 exec, exec, s[22:23]
.LBB46_16:                              ;   in Loop: Header=BB46_7 Depth=1
	s_or_b64 exec, exec, s[20:21]
	v_mov_b32_dpp v3, v6 row_shr:1 row_mask:0xf bank_mask:0xf
	v_min_i32_e32 v3, v3, v6
	s_nop 1
	v_mov_b32_dpp v4, v3 row_shr:2 row_mask:0xf bank_mask:0xf
	v_min_i32_e32 v3, v4, v3
	s_nop 1
	;; [unrolled: 3-line block ×3, first 2 shown]
	v_mov_b32_dpp v4, v3 row_shr:8 row_mask:0xf bank_mask:0xc
	v_min_i32_e32 v3, v4, v3
	v_cmp_gt_i32_e32 vcc, s11, v3
	s_and_b64 s[22:23], s[0:1], vcc
	s_and_saveexec_b64 s[20:21], s[22:23]
	s_cbranch_execz .LBB46_18
; %bb.17:                               ;   in Loop: Header=BB46_7 Depth=1
	v_add_u32_e32 v4, s39, v11
	v_ashrrev_i32_e32 v5, 31, v4
	v_lshlrev_b64 v[4:5], 2, v[4:5]
	v_add_u32_e32 v6, 1, v11
	s_waitcnt lgkmcnt(0)
	v_mov_b32_e32 v11, s7
	v_add_co_u32_e32 v4, vcc, s6, v4
	v_addc_co_u32_e32 v5, vcc, v11, v5, vcc
	v_add_u32_e32 v11, s33, v3
	global_store_dword v[4:5], v11, off
	v_mov_b32_e32 v11, v6
.LBB46_18:                              ;   in Loop: Header=BB46_7 Depth=1
	s_or_b64 exec, exec, s[20:21]
	ds_bpermute_b32 v12, v9, v3
	ds_bpermute_b32 v11, v9, v11
	v_cmp_lt_i32_e32 vcc, v8, v7
	s_and_saveexec_b64 s[20:21], vcc
	s_cbranch_execz .LBB46_6
; %bb.19:                               ;   in Loop: Header=BB46_7 Depth=1
	v_mad_u64_u32 v[3:4], s[22:23], s9, v8, v[2:3]
	s_waitcnt lgkmcnt(0)
	v_add_u32_e32 v5, s41, v11
	v_mul_lo_u32 v13, v5, s13
	v_mul_lo_u32 v14, v12, s13
	v_mad_u64_u32 v[3:4], s[22:23], s8, v3, v[1:2]
	s_mov_b64 s[22:23], 0
	v_mov_b32_e32 v4, v8
	s_branch .LBB46_21
.LBB46_20:                              ;   in Loop: Header=BB46_21 Depth=2
	s_or_b64 exec, exec, s[28:29]
	s_and_b64 s[24:25], exec, s[24:25]
	s_or_b64 s[22:23], s[24:25], s[22:23]
	s_andn2_b64 exec, exec, s[22:23]
	s_cbranch_execz .LBB46_6
.LBB46_21:                              ;   Parent Loop BB46_7 Depth=1
                                        ; =>  This Loop Header: Depth=2
                                        ;       Child Loop BB46_24 Depth 3
	s_mov_b64 s[24:25], -1
	s_and_b64 vcc, exec, s[2:3]
	s_mov_b64 s[26:27], -1
	s_cbranch_vccnz .LBB46_29
; %bb.22:                               ;   in Loop: Header=BB46_21 Depth=2
	v_ashrrev_i32_e32 v5, 31, v4
	v_lshlrev_b64 v[5:6], 2, v[4:5]
	v_mov_b32_e32 v15, s19
	v_add_co_u32_e32 v5, vcc, s18, v5
	v_addc_co_u32_e32 v6, vcc, v15, v6, vcc
	global_load_dword v5, v[5:6], off
	s_mov_b64 s[28:29], 0
	s_mov_b32 s43, s9
                                        ; implicit-def: $sgpr26_sgpr27
	s_waitcnt vmcnt(0)
	v_subrev_u32_e32 v5, s38, v5
	v_mul_lo_u32 v15, v5, s9
	v_mov_b32_e32 v5, v3
	s_branch .LBB46_24
.LBB46_23:                              ;   in Loop: Header=BB46_24 Depth=3
	s_or_b64 exec, exec, s[36:37]
	s_xor_b64 s[34:35], s[34:35], -1
	s_and_b64 s[30:31], exec, s[30:31]
	s_or_b64 s[28:29], s[30:31], s[28:29]
	s_andn2_b64 s[26:27], s[26:27], exec
	s_and_b64 s[30:31], s[34:35], exec
	s_or_b64 s[26:27], s[26:27], s[30:31]
	s_andn2_b64 exec, exec, s[28:29]
	s_cbranch_execz .LBB46_28
.LBB46_24:                              ;   Parent Loop BB46_7 Depth=1
                                        ;     Parent Loop BB46_21 Depth=2
                                        ; =>    This Inner Loop Header: Depth=3
	v_sub_u32_e32 v6, 0, v15
	v_max_i32_e32 v6, v15, v6
	v_mul_hi_u32 v16, v6, v10
	v_ashrrev_i32_e32 v18, 31, v15
	v_xor_b32_e32 v18, s42, v18
	v_mul_lo_u32 v17, v16, s10
	v_add_u32_e32 v19, 1, v16
	v_sub_u32_e32 v6, v6, v17
	v_cmp_le_u32_e32 vcc, s10, v6
	v_subrev_u32_e32 v17, s10, v6
	v_cndmask_b32_e32 v16, v16, v19, vcc
	v_cndmask_b32_e32 v6, v6, v17, vcc
	v_add_u32_e32 v17, 1, v16
	v_cmp_le_u32_e32 vcc, s10, v6
	v_cndmask_b32_e32 v6, v16, v17, vcc
	v_xor_b32_e32 v6, v6, v18
	v_sub_u32_e32 v16, v6, v18
	v_cmp_eq_u32_e32 vcc, v16, v12
	s_and_saveexec_b64 s[30:31], vcc
	s_cbranch_execz .LBB46_26
; %bb.25:                               ;   in Loop: Header=BB46_24 Depth=3
	v_ashrrev_i32_e32 v6, 31, v5
	v_lshlrev_b64 v[17:18], 4, v[5:6]
	v_mov_b32_e32 v6, s17
	v_add_co_u32_e32 v17, vcc, s16, v17
	v_addc_co_u32_e32 v18, vcc, v6, v18, vcc
	global_load_dwordx4 v[17:20], v[17:18], off
	v_sub_u32_e32 v6, v15, v14
	v_add_u32_e32 v6, v6, v13
	v_mad_u64_u32 v[21:22], s[34:35], v6, s12, v[0:1]
	v_mov_b32_e32 v6, s15
	v_ashrrev_i32_e32 v22, 31, v21
	v_lshlrev_b64 v[21:22], 4, v[21:22]
	v_add_co_u32_e32 v21, vcc, s14, v21
	v_addc_co_u32_e32 v22, vcc, v6, v22, vcc
	s_waitcnt vmcnt(0)
	global_store_dwordx4 v[21:22], v[17:20], off
.LBB46_26:                              ;   in Loop: Header=BB46_24 Depth=3
	s_or_b64 exec, exec, s[30:31]
	v_cmp_le_i32_e32 vcc, v16, v12
	s_mov_b64 s[30:31], -1
	s_mov_b64 s[34:35], -1
	s_and_saveexec_b64 s[36:37], vcc
	s_cbranch_execz .LBB46_23
; %bb.27:                               ;   in Loop: Header=BB46_24 Depth=3
	s_add_i32 s43, s43, -1
	s_cmp_eq_u32 s43, 0
	s_cselect_b64 s[30:31], -1, 0
	v_add_u32_e32 v15, 1, v15
	v_add_u32_e32 v5, s8, v5
	s_xor_b64 s[34:35], exec, -1
	s_orn2_b64 s[30:31], s[30:31], exec
	s_branch .LBB46_23
.LBB46_28:                              ;   in Loop: Header=BB46_21 Depth=2
	s_or_b64 exec, exec, s[28:29]
.LBB46_29:                              ;   in Loop: Header=BB46_21 Depth=2
	s_and_saveexec_b64 s[28:29], s[26:27]
	s_cbranch_execz .LBB46_20
; %bb.30:                               ;   in Loop: Header=BB46_21 Depth=2
	v_add_u32_e32 v4, 1, v4
	v_cmp_ge_i32_e32 vcc, v4, v7
	v_add_u32_e32 v3, s40, v3
	s_orn2_b64 s[24:25], vcc, exec
	s_branch .LBB46_20
.LBB46_31:
	s_endpgm
	.section	.rodata,"a",@progbits
	.p2align	6, 0x0
	.amdhsa_kernel _ZN9rocsparseL23gebsr2gebsr_fast_kernelIL20rocsparse_direction_1ELi16ELi16E21rocsparse_complex_numIdEEEvii21rocsparse_index_base_PKT2_PKiS9_iiiiS4_PS5_PiSB_ii
		.amdhsa_group_segment_fixed_size 0
		.amdhsa_private_segment_fixed_size 0
		.amdhsa_kernarg_size 96
		.amdhsa_user_sgpr_count 6
		.amdhsa_user_sgpr_private_segment_buffer 1
		.amdhsa_user_sgpr_dispatch_ptr 0
		.amdhsa_user_sgpr_queue_ptr 0
		.amdhsa_user_sgpr_kernarg_segment_ptr 1
		.amdhsa_user_sgpr_dispatch_id 0
		.amdhsa_user_sgpr_flat_scratch_init 0
		.amdhsa_user_sgpr_private_segment_size 0
		.amdhsa_uses_dynamic_stack 0
		.amdhsa_system_sgpr_private_segment_wavefront_offset 0
		.amdhsa_system_sgpr_workgroup_id_x 1
		.amdhsa_system_sgpr_workgroup_id_y 0
		.amdhsa_system_sgpr_workgroup_id_z 0
		.amdhsa_system_sgpr_workgroup_info 0
		.amdhsa_system_vgpr_workitem_id 0
		.amdhsa_next_free_vgpr 23
		.amdhsa_next_free_sgpr 44
		.amdhsa_reserve_vcc 1
		.amdhsa_reserve_flat_scratch 0
		.amdhsa_float_round_mode_32 0
		.amdhsa_float_round_mode_16_64 0
		.amdhsa_float_denorm_mode_32 3
		.amdhsa_float_denorm_mode_16_64 3
		.amdhsa_dx10_clamp 1
		.amdhsa_ieee_mode 1
		.amdhsa_fp16_overflow 0
		.amdhsa_exception_fp_ieee_invalid_op 0
		.amdhsa_exception_fp_denorm_src 0
		.amdhsa_exception_fp_ieee_div_zero 0
		.amdhsa_exception_fp_ieee_overflow 0
		.amdhsa_exception_fp_ieee_underflow 0
		.amdhsa_exception_fp_ieee_inexact 0
		.amdhsa_exception_int_div_zero 0
	.end_amdhsa_kernel
	.section	.text._ZN9rocsparseL23gebsr2gebsr_fast_kernelIL20rocsparse_direction_1ELi16ELi16E21rocsparse_complex_numIdEEEvii21rocsparse_index_base_PKT2_PKiS9_iiiiS4_PS5_PiSB_ii,"axG",@progbits,_ZN9rocsparseL23gebsr2gebsr_fast_kernelIL20rocsparse_direction_1ELi16ELi16E21rocsparse_complex_numIdEEEvii21rocsparse_index_base_PKT2_PKiS9_iiiiS4_PS5_PiSB_ii,comdat
.Lfunc_end46:
	.size	_ZN9rocsparseL23gebsr2gebsr_fast_kernelIL20rocsparse_direction_1ELi16ELi16E21rocsparse_complex_numIdEEEvii21rocsparse_index_base_PKT2_PKiS9_iiiiS4_PS5_PiSB_ii, .Lfunc_end46-_ZN9rocsparseL23gebsr2gebsr_fast_kernelIL20rocsparse_direction_1ELi16ELi16E21rocsparse_complex_numIdEEEvii21rocsparse_index_base_PKT2_PKiS9_iiiiS4_PS5_PiSB_ii
                                        ; -- End function
	.set _ZN9rocsparseL23gebsr2gebsr_fast_kernelIL20rocsparse_direction_1ELi16ELi16E21rocsparse_complex_numIdEEEvii21rocsparse_index_base_PKT2_PKiS9_iiiiS4_PS5_PiSB_ii.num_vgpr, 23
	.set _ZN9rocsparseL23gebsr2gebsr_fast_kernelIL20rocsparse_direction_1ELi16ELi16E21rocsparse_complex_numIdEEEvii21rocsparse_index_base_PKT2_PKiS9_iiiiS4_PS5_PiSB_ii.num_agpr, 0
	.set _ZN9rocsparseL23gebsr2gebsr_fast_kernelIL20rocsparse_direction_1ELi16ELi16E21rocsparse_complex_numIdEEEvii21rocsparse_index_base_PKT2_PKiS9_iiiiS4_PS5_PiSB_ii.numbered_sgpr, 44
	.set _ZN9rocsparseL23gebsr2gebsr_fast_kernelIL20rocsparse_direction_1ELi16ELi16E21rocsparse_complex_numIdEEEvii21rocsparse_index_base_PKT2_PKiS9_iiiiS4_PS5_PiSB_ii.num_named_barrier, 0
	.set _ZN9rocsparseL23gebsr2gebsr_fast_kernelIL20rocsparse_direction_1ELi16ELi16E21rocsparse_complex_numIdEEEvii21rocsparse_index_base_PKT2_PKiS9_iiiiS4_PS5_PiSB_ii.private_seg_size, 0
	.set _ZN9rocsparseL23gebsr2gebsr_fast_kernelIL20rocsparse_direction_1ELi16ELi16E21rocsparse_complex_numIdEEEvii21rocsparse_index_base_PKT2_PKiS9_iiiiS4_PS5_PiSB_ii.uses_vcc, 1
	.set _ZN9rocsparseL23gebsr2gebsr_fast_kernelIL20rocsparse_direction_1ELi16ELi16E21rocsparse_complex_numIdEEEvii21rocsparse_index_base_PKT2_PKiS9_iiiiS4_PS5_PiSB_ii.uses_flat_scratch, 0
	.set _ZN9rocsparseL23gebsr2gebsr_fast_kernelIL20rocsparse_direction_1ELi16ELi16E21rocsparse_complex_numIdEEEvii21rocsparse_index_base_PKT2_PKiS9_iiiiS4_PS5_PiSB_ii.has_dyn_sized_stack, 0
	.set _ZN9rocsparseL23gebsr2gebsr_fast_kernelIL20rocsparse_direction_1ELi16ELi16E21rocsparse_complex_numIdEEEvii21rocsparse_index_base_PKT2_PKiS9_iiiiS4_PS5_PiSB_ii.has_recursion, 0
	.set _ZN9rocsparseL23gebsr2gebsr_fast_kernelIL20rocsparse_direction_1ELi16ELi16E21rocsparse_complex_numIdEEEvii21rocsparse_index_base_PKT2_PKiS9_iiiiS4_PS5_PiSB_ii.has_indirect_call, 0
	.section	.AMDGPU.csdata,"",@progbits
; Kernel info:
; codeLenInByte = 1476
; TotalNumSgprs: 48
; NumVgprs: 23
; ScratchSize: 0
; MemoryBound: 0
; FloatMode: 240
; IeeeMode: 1
; LDSByteSize: 0 bytes/workgroup (compile time only)
; SGPRBlocks: 5
; VGPRBlocks: 5
; NumSGPRsForWavesPerEU: 48
; NumVGPRsForWavesPerEU: 23
; Occupancy: 10
; WaveLimiterHint : 0
; COMPUTE_PGM_RSRC2:SCRATCH_EN: 0
; COMPUTE_PGM_RSRC2:USER_SGPR: 6
; COMPUTE_PGM_RSRC2:TRAP_HANDLER: 0
; COMPUTE_PGM_RSRC2:TGID_X_EN: 1
; COMPUTE_PGM_RSRC2:TGID_Y_EN: 0
; COMPUTE_PGM_RSRC2:TGID_Z_EN: 0
; COMPUTE_PGM_RSRC2:TIDIG_COMP_CNT: 0
	.section	.text._ZN9rocsparseL23gebsr2gebsr_fast_kernelIL20rocsparse_direction_1ELi32ELi32E21rocsparse_complex_numIdEEEvii21rocsparse_index_base_PKT2_PKiS9_iiiiS4_PS5_PiSB_ii,"axG",@progbits,_ZN9rocsparseL23gebsr2gebsr_fast_kernelIL20rocsparse_direction_1ELi32ELi32E21rocsparse_complex_numIdEEEvii21rocsparse_index_base_PKT2_PKiS9_iiiiS4_PS5_PiSB_ii,comdat
	.globl	_ZN9rocsparseL23gebsr2gebsr_fast_kernelIL20rocsparse_direction_1ELi32ELi32E21rocsparse_complex_numIdEEEvii21rocsparse_index_base_PKT2_PKiS9_iiiiS4_PS5_PiSB_ii ; -- Begin function _ZN9rocsparseL23gebsr2gebsr_fast_kernelIL20rocsparse_direction_1ELi32ELi32E21rocsparse_complex_numIdEEEvii21rocsparse_index_base_PKT2_PKiS9_iiiiS4_PS5_PiSB_ii
	.p2align	8
	.type	_ZN9rocsparseL23gebsr2gebsr_fast_kernelIL20rocsparse_direction_1ELi32ELi32E21rocsparse_complex_numIdEEEvii21rocsparse_index_base_PKT2_PKiS9_iiiiS4_PS5_PiSB_ii,@function
_ZN9rocsparseL23gebsr2gebsr_fast_kernelIL20rocsparse_direction_1ELi32ELi32E21rocsparse_complex_numIdEEEvii21rocsparse_index_base_PKT2_PKiS9_iiiiS4_PS5_PiSB_ii: ; @_ZN9rocsparseL23gebsr2gebsr_fast_kernelIL20rocsparse_direction_1ELi32ELi32E21rocsparse_complex_numIdEEEvii21rocsparse_index_base_PKT2_PKiS9_iiiiS4_PS5_PiSB_ii
; %bb.0:
	s_load_dwordx4 s[8:11], s[4:5], 0x28
	s_load_dword s33, s[4:5], 0x38
	s_load_dwordx2 s[12:13], s[4:5], 0x58
	s_load_dword s3, s[4:5], 0x0
	s_load_dword s38, s[4:5], 0x8
	s_mov_b32 s39, 0
	s_waitcnt lgkmcnt(0)
	s_abs_i32 s2, s8
	v_cvt_f32_u32_e32 v1, s2
	s_sub_i32 s0, 0, s2
	v_cmp_gt_i32_e32 vcc, s12, v0
	v_mov_b32_e32 v7, 0
	v_rcp_iflag_f32_e32 v1, v1
	v_mov_b32_e32 v8, 0
	v_mul_f32_e32 v1, 0x4f7ffffe, v1
	v_cvt_u32_f32_e32 v2, v1
	v_mul_lo_u32 v1, s0, v2
	s_mul_i32 s0, s12, s6
	v_mul_hi_u32 v3, v2, v1
	v_add_u32_e32 v1, s0, v0
	v_sub_u32_e32 v4, 0, v1
	v_max_i32_e32 v5, v1, v4
	v_add_u32_e32 v2, v2, v3
	v_mul_hi_u32 v2, v5, v2
	v_xor_b32_e32 v4, s8, v1
	v_ashrrev_i32_e32 v4, 31, v4
	v_mul_lo_u32 v3, v2, s2
	v_add_u32_e32 v6, 1, v2
	v_sub_u32_e32 v3, v5, v3
	v_cmp_le_u32_e64 s[0:1], s2, v3
	v_subrev_u32_e32 v5, s2, v3
	v_cndmask_b32_e64 v2, v2, v6, s[0:1]
	v_cndmask_b32_e64 v3, v3, v5, s[0:1]
	v_add_u32_e32 v5, 1, v2
	v_cmp_le_u32_e64 s[0:1], s2, v3
	v_cndmask_b32_e64 v2, v2, v5, s[0:1]
	v_xor_b32_e32 v5, v2, v4
	v_sub_u32_e32 v2, v5, v4
	v_cmp_gt_i32_e64 s[0:1], s3, v2
	s_and_b64 s[2:3], vcc, s[0:1]
	s_and_saveexec_b64 s[0:1], s[2:3]
	s_cbranch_execnz .LBB47_3
; %bb.1:
	s_or_b64 exec, exec, s[0:1]
	s_cmp_ge_i32 s6, s10
	s_cbranch_scc0 .LBB47_4
.LBB47_2:
	s_cmp_lt_i32 s11, 1
	s_cbranch_scc0 .LBB47_5
	s_branch .LBB47_31
.LBB47_3:
	s_load_dwordx2 s[2:3], s[4:5], 0x18
	v_ashrrev_i32_e32 v3, 31, v2
	v_lshlrev_b64 v[2:3], 2, v[2:3]
	s_waitcnt lgkmcnt(0)
	v_mov_b32_e32 v6, s3
	v_add_co_u32_e32 v2, vcc, s2, v2
	v_addc_co_u32_e32 v3, vcc, v6, v3, vcc
	global_load_dwordx2 v[2:3], v[2:3], off
	s_waitcnt vmcnt(0)
	v_subrev_u32_e32 v8, s38, v2
	v_subrev_u32_e32 v7, s38, v3
	s_or_b64 exec, exec, s[0:1]
	s_cmp_ge_i32 s6, s10
	s_cbranch_scc1 .LBB47_2
.LBB47_4:
	s_load_dwordx2 s[0:1], s[4:5], 0x48
	s_ashr_i32 s7, s6, 31
	s_lshl_b64 s[2:3], s[6:7], 2
	s_waitcnt lgkmcnt(0)
	s_add_u32 s0, s0, s2
	s_addc_u32 s1, s1, s3
	s_load_dword s0, s[0:1], 0x0
	s_waitcnt lgkmcnt(0)
	s_sub_i32 s39, s0, s33
	s_cmp_lt_i32 s11, 1
	s_cbranch_scc1 .LBB47_31
.LBB47_5:
	s_cmp_gt_i32 s9, 0
	s_cselect_b64 s[2:3], -1, 0
	s_abs_i32 s10, s13
	v_cvt_f32_u32_e32 v2, s10
	s_load_dwordx2 s[6:7], s[4:5], 0x50
	s_load_dwordx2 s[14:15], s[4:5], 0x40
	;; [unrolled: 1-line block ×4, first 2 shown]
	s_sub_i32 s4, 0, s10
	v_mbcnt_lo_u32_b32 v6, -1, 0
	v_rcp_iflag_f32_e32 v2, v2
	v_mov_b32_e32 v9, 0x7c
	v_cmp_eq_u32_e64 s[0:1], 31, v0
	s_mul_i32 s40, s9, s8
	v_mul_f32_e32 v2, 0x4f7ffffe, v2
	v_cvt_u32_f32_e32 v3, v2
	v_sub_u32_e32 v2, v4, v5
	v_mbcnt_hi_u32_b32 v4, -1, v6
	s_add_i32 s41, s39, -1
	v_mul_lo_u32 v10, s4, v3
	s_ashr_i32 s42, s13, 31
	v_lshl_or_b32 v9, v4, 2, v9
	s_mov_b64 s[4:5], 0
	v_mul_hi_u32 v5, v3, v10
	v_mov_b32_e32 v11, 0
	v_add_u32_e32 v10, v3, v5
	v_cndmask_b32_e64 v3, 0, 1, s[2:3]
	v_mov_b32_e32 v5, 0
	v_cmp_ne_u32_e64 s[2:3], 1, v3
	s_branch .LBB47_7
.LBB47_6:                               ;   in Loop: Header=BB47_7 Depth=1
	s_or_b64 exec, exec, s[20:21]
	s_waitcnt lgkmcnt(0)
	v_add_u32_e32 v5, 1, v12
	v_cmp_le_i32_e32 vcc, s11, v5
	s_or_b64 s[4:5], vcc, s[4:5]
	s_andn2_b64 exec, exec, s[4:5]
	s_cbranch_execz .LBB47_31
.LBB47_7:                               ; =>This Loop Header: Depth=1
                                        ;     Child Loop BB47_11 Depth 2
                                        ;       Child Loop BB47_13 Depth 3
                                        ;     Child Loop BB47_21 Depth 2
                                        ;       Child Loop BB47_24 Depth 3
	v_cmp_lt_i32_e32 vcc, v8, v7
	v_mov_b32_e32 v6, s11
	s_and_saveexec_b64 s[20:21], vcc
	s_cbranch_execz .LBB47_16
; %bb.8:                                ;   in Loop: Header=BB47_7 Depth=1
	s_mov_b64 s[22:23], 0
	v_mov_b32_e32 v6, s11
	v_mov_b32_e32 v3, v8
	s_branch .LBB47_11
.LBB47_9:                               ;   in Loop: Header=BB47_11 Depth=2
	s_mov_b64 s[24:25], 0
.LBB47_10:                              ;   in Loop: Header=BB47_11 Depth=2
	v_add_u32_e32 v3, 1, v3
	v_cmp_ge_i32_e32 vcc, v3, v7
	s_or_b64 s[24:25], s[24:25], vcc
	s_and_b64 s[24:25], exec, s[24:25]
	s_or_b64 s[22:23], s[24:25], s[22:23]
	s_andn2_b64 exec, exec, s[22:23]
	s_cbranch_execz .LBB47_15
.LBB47_11:                              ;   Parent Loop BB47_7 Depth=1
                                        ; =>  This Loop Header: Depth=2
                                        ;       Child Loop BB47_13 Depth 3
	s_and_b64 vcc, exec, s[2:3]
	s_cbranch_vccnz .LBB47_9
; %bb.12:                               ;   in Loop: Header=BB47_11 Depth=2
	v_ashrrev_i32_e32 v4, 31, v3
	v_lshlrev_b64 v[12:13], 2, v[3:4]
	s_waitcnt lgkmcnt(0)
	v_mov_b32_e32 v4, s19
	v_add_co_u32_e32 v12, vcc, s18, v12
	v_addc_co_u32_e32 v13, vcc, v4, v13, vcc
	global_load_dword v4, v[12:13], off
	s_mov_b32 s30, 0
	s_mov_b64 s[28:29], 0
	s_mov_b64 s[26:27], 0
                                        ; implicit-def: $sgpr24_sgpr25
	s_waitcnt vmcnt(0)
	v_subrev_u32_e32 v4, s38, v4
	v_mul_lo_u32 v4, v4, s9
.LBB47_13:                              ;   Parent Loop BB47_7 Depth=1
                                        ;     Parent Loop BB47_11 Depth=2
                                        ; =>    This Inner Loop Header: Depth=3
	v_add_u32_e32 v12, s30, v4
	v_sub_u32_e32 v14, 0, v12
	v_ashrrev_i32_e32 v13, 31, v12
	v_max_i32_e32 v12, v12, v14
	v_mul_hi_u32 v14, v12, v10
	v_xor_b32_e32 v13, s42, v13
	s_add_i32 s30, s30, 1
	v_mul_lo_u32 v15, v14, s10
	v_add_u32_e32 v16, 1, v14
	v_sub_u32_e32 v12, v12, v15
	v_cmp_le_u32_e32 vcc, s10, v12
	v_subrev_u32_e32 v15, s10, v12
	v_cndmask_b32_e32 v14, v14, v16, vcc
	v_cndmask_b32_e32 v12, v12, v15, vcc
	v_add_u32_e32 v15, 1, v14
	v_cmp_le_u32_e32 vcc, s10, v12
	v_cndmask_b32_e32 v12, v14, v15, vcc
	v_xor_b32_e32 v12, v12, v13
	v_sub_u32_e32 v12, v12, v13
	v_cmp_ge_i32_e32 vcc, v12, v5
	s_or_b64 s[28:29], vcc, s[28:29]
	s_cmp_ge_i32 s30, s9
	s_cselect_b64 s[34:35], -1, 0
	s_or_b64 s[34:35], vcc, s[34:35]
	s_and_b64 s[34:35], exec, s[34:35]
	s_or_b64 s[26:27], s[34:35], s[26:27]
	s_andn2_b64 s[24:25], s[24:25], exec
	s_and_b64 s[34:35], s[28:29], exec
	v_cndmask_b32_e32 v6, v6, v12, vcc
	v_cndmask_b32_e32 v8, v8, v3, vcc
	s_or_b64 s[24:25], s[24:25], s[34:35]
	s_andn2_b64 exec, exec, s[26:27]
	s_cbranch_execnz .LBB47_13
; %bb.14:                               ;   in Loop: Header=BB47_11 Depth=2
	s_or_b64 exec, exec, s[26:27]
	s_branch .LBB47_10
.LBB47_15:                              ;   in Loop: Header=BB47_7 Depth=1
	s_or_b64 exec, exec, s[22:23]
.LBB47_16:                              ;   in Loop: Header=BB47_7 Depth=1
	s_or_b64 exec, exec, s[20:21]
	v_mov_b32_dpp v3, v6 row_shr:1 row_mask:0xf bank_mask:0xf
	v_min_i32_e32 v3, v3, v6
	s_nop 1
	v_mov_b32_dpp v4, v3 row_shr:2 row_mask:0xf bank_mask:0xf
	v_min_i32_e32 v3, v4, v3
	s_nop 1
	;; [unrolled: 3-line block ×4, first 2 shown]
	v_mov_b32_dpp v4, v3 row_bcast:15 row_mask:0xa bank_mask:0xf
	v_min_i32_e32 v3, v4, v3
	v_cmp_gt_i32_e32 vcc, s11, v3
	s_and_b64 s[22:23], s[0:1], vcc
	s_and_saveexec_b64 s[20:21], s[22:23]
	s_cbranch_execz .LBB47_18
; %bb.17:                               ;   in Loop: Header=BB47_7 Depth=1
	v_add_u32_e32 v4, s39, v11
	v_ashrrev_i32_e32 v5, 31, v4
	v_lshlrev_b64 v[4:5], 2, v[4:5]
	v_add_u32_e32 v6, 1, v11
	s_waitcnt lgkmcnt(0)
	v_mov_b32_e32 v11, s7
	v_add_co_u32_e32 v4, vcc, s6, v4
	v_addc_co_u32_e32 v5, vcc, v11, v5, vcc
	v_add_u32_e32 v11, s33, v3
	global_store_dword v[4:5], v11, off
	v_mov_b32_e32 v11, v6
.LBB47_18:                              ;   in Loop: Header=BB47_7 Depth=1
	s_or_b64 exec, exec, s[20:21]
	ds_bpermute_b32 v12, v9, v3
	ds_bpermute_b32 v11, v9, v11
	v_cmp_lt_i32_e32 vcc, v8, v7
	s_and_saveexec_b64 s[20:21], vcc
	s_cbranch_execz .LBB47_6
; %bb.19:                               ;   in Loop: Header=BB47_7 Depth=1
	v_mad_u64_u32 v[3:4], s[22:23], s9, v8, v[2:3]
	s_waitcnt lgkmcnt(0)
	v_add_u32_e32 v5, s41, v11
	v_mul_lo_u32 v13, v5, s13
	v_mul_lo_u32 v14, v12, s13
	v_mad_u64_u32 v[3:4], s[22:23], s8, v3, v[1:2]
	s_mov_b64 s[22:23], 0
	v_mov_b32_e32 v4, v8
	s_branch .LBB47_21
.LBB47_20:                              ;   in Loop: Header=BB47_21 Depth=2
	s_or_b64 exec, exec, s[28:29]
	s_and_b64 s[24:25], exec, s[24:25]
	s_or_b64 s[22:23], s[24:25], s[22:23]
	s_andn2_b64 exec, exec, s[22:23]
	s_cbranch_execz .LBB47_6
.LBB47_21:                              ;   Parent Loop BB47_7 Depth=1
                                        ; =>  This Loop Header: Depth=2
                                        ;       Child Loop BB47_24 Depth 3
	s_mov_b64 s[24:25], -1
	s_and_b64 vcc, exec, s[2:3]
	s_mov_b64 s[26:27], -1
	s_cbranch_vccnz .LBB47_29
; %bb.22:                               ;   in Loop: Header=BB47_21 Depth=2
	v_ashrrev_i32_e32 v5, 31, v4
	v_lshlrev_b64 v[5:6], 2, v[4:5]
	v_mov_b32_e32 v15, s19
	v_add_co_u32_e32 v5, vcc, s18, v5
	v_addc_co_u32_e32 v6, vcc, v15, v6, vcc
	global_load_dword v5, v[5:6], off
	s_mov_b64 s[28:29], 0
	s_mov_b32 s43, s9
                                        ; implicit-def: $sgpr26_sgpr27
	s_waitcnt vmcnt(0)
	v_subrev_u32_e32 v5, s38, v5
	v_mul_lo_u32 v15, v5, s9
	v_mov_b32_e32 v5, v3
	s_branch .LBB47_24
.LBB47_23:                              ;   in Loop: Header=BB47_24 Depth=3
	s_or_b64 exec, exec, s[36:37]
	s_xor_b64 s[34:35], s[34:35], -1
	s_and_b64 s[30:31], exec, s[30:31]
	s_or_b64 s[28:29], s[30:31], s[28:29]
	s_andn2_b64 s[26:27], s[26:27], exec
	s_and_b64 s[30:31], s[34:35], exec
	s_or_b64 s[26:27], s[26:27], s[30:31]
	s_andn2_b64 exec, exec, s[28:29]
	s_cbranch_execz .LBB47_28
.LBB47_24:                              ;   Parent Loop BB47_7 Depth=1
                                        ;     Parent Loop BB47_21 Depth=2
                                        ; =>    This Inner Loop Header: Depth=3
	v_sub_u32_e32 v6, 0, v15
	v_max_i32_e32 v6, v15, v6
	v_mul_hi_u32 v16, v6, v10
	v_ashrrev_i32_e32 v18, 31, v15
	v_xor_b32_e32 v18, s42, v18
	v_mul_lo_u32 v17, v16, s10
	v_add_u32_e32 v19, 1, v16
	v_sub_u32_e32 v6, v6, v17
	v_cmp_le_u32_e32 vcc, s10, v6
	v_subrev_u32_e32 v17, s10, v6
	v_cndmask_b32_e32 v16, v16, v19, vcc
	v_cndmask_b32_e32 v6, v6, v17, vcc
	v_add_u32_e32 v17, 1, v16
	v_cmp_le_u32_e32 vcc, s10, v6
	v_cndmask_b32_e32 v6, v16, v17, vcc
	v_xor_b32_e32 v6, v6, v18
	v_sub_u32_e32 v16, v6, v18
	v_cmp_eq_u32_e32 vcc, v16, v12
	s_and_saveexec_b64 s[30:31], vcc
	s_cbranch_execz .LBB47_26
; %bb.25:                               ;   in Loop: Header=BB47_24 Depth=3
	v_ashrrev_i32_e32 v6, 31, v5
	v_lshlrev_b64 v[17:18], 4, v[5:6]
	v_mov_b32_e32 v6, s17
	v_add_co_u32_e32 v17, vcc, s16, v17
	v_addc_co_u32_e32 v18, vcc, v6, v18, vcc
	global_load_dwordx4 v[17:20], v[17:18], off
	v_sub_u32_e32 v6, v15, v14
	v_add_u32_e32 v6, v6, v13
	v_mad_u64_u32 v[21:22], s[34:35], v6, s12, v[0:1]
	v_mov_b32_e32 v6, s15
	v_ashrrev_i32_e32 v22, 31, v21
	v_lshlrev_b64 v[21:22], 4, v[21:22]
	v_add_co_u32_e32 v21, vcc, s14, v21
	v_addc_co_u32_e32 v22, vcc, v6, v22, vcc
	s_waitcnt vmcnt(0)
	global_store_dwordx4 v[21:22], v[17:20], off
.LBB47_26:                              ;   in Loop: Header=BB47_24 Depth=3
	s_or_b64 exec, exec, s[30:31]
	v_cmp_le_i32_e32 vcc, v16, v12
	s_mov_b64 s[30:31], -1
	s_mov_b64 s[34:35], -1
	s_and_saveexec_b64 s[36:37], vcc
	s_cbranch_execz .LBB47_23
; %bb.27:                               ;   in Loop: Header=BB47_24 Depth=3
	s_add_i32 s43, s43, -1
	s_cmp_eq_u32 s43, 0
	s_cselect_b64 s[30:31], -1, 0
	v_add_u32_e32 v15, 1, v15
	v_add_u32_e32 v5, s8, v5
	s_xor_b64 s[34:35], exec, -1
	s_orn2_b64 s[30:31], s[30:31], exec
	s_branch .LBB47_23
.LBB47_28:                              ;   in Loop: Header=BB47_21 Depth=2
	s_or_b64 exec, exec, s[28:29]
.LBB47_29:                              ;   in Loop: Header=BB47_21 Depth=2
	s_and_saveexec_b64 s[28:29], s[26:27]
	s_cbranch_execz .LBB47_20
; %bb.30:                               ;   in Loop: Header=BB47_21 Depth=2
	v_add_u32_e32 v4, 1, v4
	v_cmp_ge_i32_e32 vcc, v4, v7
	v_add_u32_e32 v3, s40, v3
	s_orn2_b64 s[24:25], vcc, exec
	s_branch .LBB47_20
.LBB47_31:
	s_endpgm
	.section	.rodata,"a",@progbits
	.p2align	6, 0x0
	.amdhsa_kernel _ZN9rocsparseL23gebsr2gebsr_fast_kernelIL20rocsparse_direction_1ELi32ELi32E21rocsparse_complex_numIdEEEvii21rocsparse_index_base_PKT2_PKiS9_iiiiS4_PS5_PiSB_ii
		.amdhsa_group_segment_fixed_size 0
		.amdhsa_private_segment_fixed_size 0
		.amdhsa_kernarg_size 96
		.amdhsa_user_sgpr_count 6
		.amdhsa_user_sgpr_private_segment_buffer 1
		.amdhsa_user_sgpr_dispatch_ptr 0
		.amdhsa_user_sgpr_queue_ptr 0
		.amdhsa_user_sgpr_kernarg_segment_ptr 1
		.amdhsa_user_sgpr_dispatch_id 0
		.amdhsa_user_sgpr_flat_scratch_init 0
		.amdhsa_user_sgpr_private_segment_size 0
		.amdhsa_uses_dynamic_stack 0
		.amdhsa_system_sgpr_private_segment_wavefront_offset 0
		.amdhsa_system_sgpr_workgroup_id_x 1
		.amdhsa_system_sgpr_workgroup_id_y 0
		.amdhsa_system_sgpr_workgroup_id_z 0
		.amdhsa_system_sgpr_workgroup_info 0
		.amdhsa_system_vgpr_workitem_id 0
		.amdhsa_next_free_vgpr 23
		.amdhsa_next_free_sgpr 44
		.amdhsa_reserve_vcc 1
		.amdhsa_reserve_flat_scratch 0
		.amdhsa_float_round_mode_32 0
		.amdhsa_float_round_mode_16_64 0
		.amdhsa_float_denorm_mode_32 3
		.amdhsa_float_denorm_mode_16_64 3
		.amdhsa_dx10_clamp 1
		.amdhsa_ieee_mode 1
		.amdhsa_fp16_overflow 0
		.amdhsa_exception_fp_ieee_invalid_op 0
		.amdhsa_exception_fp_denorm_src 0
		.amdhsa_exception_fp_ieee_div_zero 0
		.amdhsa_exception_fp_ieee_overflow 0
		.amdhsa_exception_fp_ieee_underflow 0
		.amdhsa_exception_fp_ieee_inexact 0
		.amdhsa_exception_int_div_zero 0
	.end_amdhsa_kernel
	.section	.text._ZN9rocsparseL23gebsr2gebsr_fast_kernelIL20rocsparse_direction_1ELi32ELi32E21rocsparse_complex_numIdEEEvii21rocsparse_index_base_PKT2_PKiS9_iiiiS4_PS5_PiSB_ii,"axG",@progbits,_ZN9rocsparseL23gebsr2gebsr_fast_kernelIL20rocsparse_direction_1ELi32ELi32E21rocsparse_complex_numIdEEEvii21rocsparse_index_base_PKT2_PKiS9_iiiiS4_PS5_PiSB_ii,comdat
.Lfunc_end47:
	.size	_ZN9rocsparseL23gebsr2gebsr_fast_kernelIL20rocsparse_direction_1ELi32ELi32E21rocsparse_complex_numIdEEEvii21rocsparse_index_base_PKT2_PKiS9_iiiiS4_PS5_PiSB_ii, .Lfunc_end47-_ZN9rocsparseL23gebsr2gebsr_fast_kernelIL20rocsparse_direction_1ELi32ELi32E21rocsparse_complex_numIdEEEvii21rocsparse_index_base_PKT2_PKiS9_iiiiS4_PS5_PiSB_ii
                                        ; -- End function
	.set _ZN9rocsparseL23gebsr2gebsr_fast_kernelIL20rocsparse_direction_1ELi32ELi32E21rocsparse_complex_numIdEEEvii21rocsparse_index_base_PKT2_PKiS9_iiiiS4_PS5_PiSB_ii.num_vgpr, 23
	.set _ZN9rocsparseL23gebsr2gebsr_fast_kernelIL20rocsparse_direction_1ELi32ELi32E21rocsparse_complex_numIdEEEvii21rocsparse_index_base_PKT2_PKiS9_iiiiS4_PS5_PiSB_ii.num_agpr, 0
	.set _ZN9rocsparseL23gebsr2gebsr_fast_kernelIL20rocsparse_direction_1ELi32ELi32E21rocsparse_complex_numIdEEEvii21rocsparse_index_base_PKT2_PKiS9_iiiiS4_PS5_PiSB_ii.numbered_sgpr, 44
	.set _ZN9rocsparseL23gebsr2gebsr_fast_kernelIL20rocsparse_direction_1ELi32ELi32E21rocsparse_complex_numIdEEEvii21rocsparse_index_base_PKT2_PKiS9_iiiiS4_PS5_PiSB_ii.num_named_barrier, 0
	.set _ZN9rocsparseL23gebsr2gebsr_fast_kernelIL20rocsparse_direction_1ELi32ELi32E21rocsparse_complex_numIdEEEvii21rocsparse_index_base_PKT2_PKiS9_iiiiS4_PS5_PiSB_ii.private_seg_size, 0
	.set _ZN9rocsparseL23gebsr2gebsr_fast_kernelIL20rocsparse_direction_1ELi32ELi32E21rocsparse_complex_numIdEEEvii21rocsparse_index_base_PKT2_PKiS9_iiiiS4_PS5_PiSB_ii.uses_vcc, 1
	.set _ZN9rocsparseL23gebsr2gebsr_fast_kernelIL20rocsparse_direction_1ELi32ELi32E21rocsparse_complex_numIdEEEvii21rocsparse_index_base_PKT2_PKiS9_iiiiS4_PS5_PiSB_ii.uses_flat_scratch, 0
	.set _ZN9rocsparseL23gebsr2gebsr_fast_kernelIL20rocsparse_direction_1ELi32ELi32E21rocsparse_complex_numIdEEEvii21rocsparse_index_base_PKT2_PKiS9_iiiiS4_PS5_PiSB_ii.has_dyn_sized_stack, 0
	.set _ZN9rocsparseL23gebsr2gebsr_fast_kernelIL20rocsparse_direction_1ELi32ELi32E21rocsparse_complex_numIdEEEvii21rocsparse_index_base_PKT2_PKiS9_iiiiS4_PS5_PiSB_ii.has_recursion, 0
	.set _ZN9rocsparseL23gebsr2gebsr_fast_kernelIL20rocsparse_direction_1ELi32ELi32E21rocsparse_complex_numIdEEEvii21rocsparse_index_base_PKT2_PKiS9_iiiiS4_PS5_PiSB_ii.has_indirect_call, 0
	.section	.AMDGPU.csdata,"",@progbits
; Kernel info:
; codeLenInByte = 1500
; TotalNumSgprs: 48
; NumVgprs: 23
; ScratchSize: 0
; MemoryBound: 0
; FloatMode: 240
; IeeeMode: 1
; LDSByteSize: 0 bytes/workgroup (compile time only)
; SGPRBlocks: 5
; VGPRBlocks: 5
; NumSGPRsForWavesPerEU: 48
; NumVGPRsForWavesPerEU: 23
; Occupancy: 10
; WaveLimiterHint : 0
; COMPUTE_PGM_RSRC2:SCRATCH_EN: 0
; COMPUTE_PGM_RSRC2:USER_SGPR: 6
; COMPUTE_PGM_RSRC2:TRAP_HANDLER: 0
; COMPUTE_PGM_RSRC2:TGID_X_EN: 1
; COMPUTE_PGM_RSRC2:TGID_Y_EN: 0
; COMPUTE_PGM_RSRC2:TGID_Z_EN: 0
; COMPUTE_PGM_RSRC2:TIDIG_COMP_CNT: 0
	.section	.AMDGPU.gpr_maximums,"",@progbits
	.set amdgpu.max_num_vgpr, 0
	.set amdgpu.max_num_agpr, 0
	.set amdgpu.max_num_sgpr, 0
	.section	.AMDGPU.csdata,"",@progbits
	.type	__hip_cuid_68687bccc5565a9d,@object ; @__hip_cuid_68687bccc5565a9d
	.section	.bss,"aw",@nobits
	.globl	__hip_cuid_68687bccc5565a9d
__hip_cuid_68687bccc5565a9d:
	.byte	0                               ; 0x0
	.size	__hip_cuid_68687bccc5565a9d, 1

	.ident	"AMD clang version 22.0.0git (https://github.com/RadeonOpenCompute/llvm-project roc-7.2.4 26084 f58b06dce1f9c15707c5f808fd002e18c2accf7e)"
	.section	".note.GNU-stack","",@progbits
	.addrsig
	.addrsig_sym __hip_cuid_68687bccc5565a9d
	.amdgpu_metadata
---
amdhsa.kernels:
  - .args:
      - .offset:         0
        .size:           4
        .value_kind:     by_value
      - .offset:         4
        .size:           4
        .value_kind:     by_value
      - .offset:         8
        .size:           4
        .value_kind:     by_value
      - .actual_access:  read_only
        .address_space:  global
        .offset:         16
        .size:           8
        .value_kind:     global_buffer
      - .actual_access:  read_only
        .address_space:  global
        .offset:         24
        .size:           8
        .value_kind:     global_buffer
      - .offset:         32
        .size:           4
        .value_kind:     by_value
      - .offset:         36
        .size:           4
        .value_kind:     by_value
      - .offset:         40
        .size:           4
        .value_kind:     by_value
      - .actual_access:  write_only
        .address_space:  global
        .offset:         48
        .size:           8
        .value_kind:     global_buffer
      - .actual_access:  write_only
        .address_space:  global
        .offset:         56
        .size:           8
        .value_kind:     global_buffer
      - .offset:         64
        .size:           4
        .value_kind:     hidden_block_count_x
      - .offset:         68
        .size:           4
        .value_kind:     hidden_block_count_y
      - .offset:         72
        .size:           4
        .value_kind:     hidden_block_count_z
      - .offset:         76
        .size:           2
        .value_kind:     hidden_group_size_x
      - .offset:         78
        .size:           2
        .value_kind:     hidden_group_size_y
      - .offset:         80
        .size:           2
        .value_kind:     hidden_group_size_z
      - .offset:         82
        .size:           2
        .value_kind:     hidden_remainder_x
      - .offset:         84
        .size:           2
        .value_kind:     hidden_remainder_y
      - .offset:         86
        .size:           2
        .value_kind:     hidden_remainder_z
      - .offset:         104
        .size:           8
        .value_kind:     hidden_global_offset_x
      - .offset:         112
        .size:           8
        .value_kind:     hidden_global_offset_y
      - .offset:         120
        .size:           8
        .value_kind:     hidden_global_offset_z
      - .offset:         128
        .size:           2
        .value_kind:     hidden_grid_dims
    .group_segment_fixed_size: 0
    .kernarg_segment_align: 8
    .kernarg_segment_size: 320
    .language:       OpenCL C
    .language_version:
      - 2
      - 0
    .max_flat_workgroup_size: 256
    .name:           _ZN9rocsparseL20gebsr2csr_nnz_kernelILi256ELi32EEEvii21rocsparse_index_base_PKiS3_iiS1_PiS4_
    .private_segment_fixed_size: 0
    .sgpr_count:     17
    .sgpr_spill_count: 0
    .symbol:         _ZN9rocsparseL20gebsr2csr_nnz_kernelILi256ELi32EEEvii21rocsparse_index_base_PKiS3_iiS1_PiS4_.kd
    .uniform_work_group_size: 1
    .uses_dynamic_stack: false
    .vgpr_count:     11
    .vgpr_spill_count: 0
    .wavefront_size: 64
  - .args:
      - .offset:         0
        .size:           4
        .value_kind:     by_value
      - .offset:         4
        .size:           4
        .value_kind:     by_value
      - .offset:         8
        .size:           4
        .value_kind:     by_value
      - .actual_access:  read_only
        .address_space:  global
        .offset:         16
        .size:           8
        .value_kind:     global_buffer
      - .actual_access:  read_only
        .address_space:  global
        .offset:         24
        .size:           8
        .value_kind:     global_buffer
      - .offset:         32
        .size:           4
        .value_kind:     by_value
      - .offset:         36
        .size:           4
        .value_kind:     by_value
      - .offset:         40
        .size:           4
        .value_kind:     by_value
      - .actual_access:  write_only
        .address_space:  global
        .offset:         48
        .size:           8
        .value_kind:     global_buffer
      - .actual_access:  write_only
        .address_space:  global
        .offset:         56
        .size:           8
        .value_kind:     global_buffer
      - .offset:         64
        .size:           4
        .value_kind:     hidden_block_count_x
      - .offset:         68
        .size:           4
        .value_kind:     hidden_block_count_y
      - .offset:         72
        .size:           4
        .value_kind:     hidden_block_count_z
      - .offset:         76
        .size:           2
        .value_kind:     hidden_group_size_x
      - .offset:         78
        .size:           2
        .value_kind:     hidden_group_size_y
      - .offset:         80
        .size:           2
        .value_kind:     hidden_group_size_z
      - .offset:         82
        .size:           2
        .value_kind:     hidden_remainder_x
      - .offset:         84
        .size:           2
        .value_kind:     hidden_remainder_y
      - .offset:         86
        .size:           2
        .value_kind:     hidden_remainder_z
      - .offset:         104
        .size:           8
        .value_kind:     hidden_global_offset_x
      - .offset:         112
        .size:           8
        .value_kind:     hidden_global_offset_y
      - .offset:         120
        .size:           8
        .value_kind:     hidden_global_offset_z
      - .offset:         128
        .size:           2
        .value_kind:     hidden_grid_dims
    .group_segment_fixed_size: 0
    .kernarg_segment_align: 8
    .kernarg_segment_size: 320
    .language:       OpenCL C
    .language_version:
      - 2
      - 0
    .max_flat_workgroup_size: 256
    .name:           _ZN9rocsparseL20gebsr2csr_nnz_kernelILi256ELi64EEEvii21rocsparse_index_base_PKiS3_iiS1_PiS4_
    .private_segment_fixed_size: 0
    .sgpr_count:     17
    .sgpr_spill_count: 0
    .symbol:         _ZN9rocsparseL20gebsr2csr_nnz_kernelILi256ELi64EEEvii21rocsparse_index_base_PKiS3_iiS1_PiS4_.kd
    .uniform_work_group_size: 1
    .uses_dynamic_stack: false
    .vgpr_count:     11
    .vgpr_spill_count: 0
    .wavefront_size: 64
  - .args:
      - .offset:         0
        .size:           4
        .value_kind:     by_value
      - .offset:         4
        .size:           4
        .value_kind:     by_value
      - .offset:         8
        .size:           4
        .value_kind:     by_value
      - .actual_access:  read_only
        .address_space:  global
        .offset:         16
        .size:           8
        .value_kind:     global_buffer
      - .actual_access:  read_only
        .address_space:  global
        .offset:         24
        .size:           8
        .value_kind:     global_buffer
      - .offset:         32
        .size:           4
        .value_kind:     by_value
      - .offset:         36
        .size:           4
        .value_kind:     by_value
      - .offset:         40
        .size:           4
        .value_kind:     by_value
      - .offset:         44
        .size:           4
        .value_kind:     by_value
      - .offset:         48
        .size:           4
        .value_kind:     by_value
      - .actual_access:  write_only
        .address_space:  global
        .offset:         56
        .size:           8
        .value_kind:     global_buffer
      - .offset:         64
        .size:           4
        .value_kind:     by_value
      - .offset:         68
        .size:           4
        .value_kind:     by_value
    .group_segment_fixed_size: 0
    .kernarg_segment_align: 8
    .kernarg_segment_size: 72
    .language:       OpenCL C
    .language_version:
      - 2
      - 0
    .max_flat_workgroup_size: 16
    .name:           _ZN9rocsparseL27gebsr2gebsr_nnz_fast_kernelILi16ELi2EEEvii21rocsparse_index_base_PKiS3_iiiiS1_Piii
    .private_segment_fixed_size: 0
    .sgpr_count:     34
    .sgpr_spill_count: 0
    .symbol:         _ZN9rocsparseL27gebsr2gebsr_nnz_fast_kernelILi16ELi2EEEvii21rocsparse_index_base_PKiS3_iiiiS1_Piii.kd
    .uniform_work_group_size: 1
    .uses_dynamic_stack: false
    .vgpr_count:     16
    .vgpr_spill_count: 0
    .wavefront_size: 64
  - .args:
      - .offset:         0
        .size:           4
        .value_kind:     by_value
      - .offset:         4
        .size:           4
        .value_kind:     by_value
      - .offset:         8
        .size:           4
        .value_kind:     by_value
      - .actual_access:  read_only
        .address_space:  global
        .offset:         16
        .size:           8
        .value_kind:     global_buffer
      - .actual_access:  read_only
        .address_space:  global
        .offset:         24
        .size:           8
        .value_kind:     global_buffer
      - .offset:         32
        .size:           4
        .value_kind:     by_value
      - .offset:         36
        .size:           4
        .value_kind:     by_value
      - .offset:         40
        .size:           4
        .value_kind:     by_value
      - .offset:         44
        .size:           4
        .value_kind:     by_value
      - .offset:         48
        .size:           4
        .value_kind:     by_value
      - .actual_access:  write_only
        .address_space:  global
        .offset:         56
        .size:           8
        .value_kind:     global_buffer
      - .offset:         64
        .size:           4
        .value_kind:     by_value
      - .offset:         68
        .size:           4
        .value_kind:     by_value
    .group_segment_fixed_size: 0
    .kernarg_segment_align: 8
    .kernarg_segment_size: 72
    .language:       OpenCL C
    .language_version:
      - 2
      - 0
    .max_flat_workgroup_size: 16
    .name:           _ZN9rocsparseL27gebsr2gebsr_nnz_fast_kernelILi16ELi4EEEvii21rocsparse_index_base_PKiS3_iiiiS1_Piii
    .private_segment_fixed_size: 0
    .sgpr_count:     34
    .sgpr_spill_count: 0
    .symbol:         _ZN9rocsparseL27gebsr2gebsr_nnz_fast_kernelILi16ELi4EEEvii21rocsparse_index_base_PKiS3_iiiiS1_Piii.kd
    .uniform_work_group_size: 1
    .uses_dynamic_stack: false
    .vgpr_count:     16
    .vgpr_spill_count: 0
    .wavefront_size: 64
  - .args:
      - .offset:         0
        .size:           4
        .value_kind:     by_value
      - .offset:         4
        .size:           4
        .value_kind:     by_value
      - .offset:         8
        .size:           4
        .value_kind:     by_value
      - .actual_access:  read_only
        .address_space:  global
        .offset:         16
        .size:           8
        .value_kind:     global_buffer
      - .actual_access:  read_only
        .address_space:  global
        .offset:         24
        .size:           8
        .value_kind:     global_buffer
      - .offset:         32
        .size:           4
        .value_kind:     by_value
      - .offset:         36
        .size:           4
        .value_kind:     by_value
      - .offset:         40
        .size:           4
        .value_kind:     by_value
      - .offset:         44
        .size:           4
        .value_kind:     by_value
      - .offset:         48
        .size:           4
        .value_kind:     by_value
      - .actual_access:  write_only
        .address_space:  global
        .offset:         56
        .size:           8
        .value_kind:     global_buffer
      - .offset:         64
        .size:           4
        .value_kind:     by_value
      - .offset:         68
        .size:           4
        .value_kind:     by_value
    .group_segment_fixed_size: 0
    .kernarg_segment_align: 8
    .kernarg_segment_size: 72
    .language:       OpenCL C
    .language_version:
      - 2
      - 0
    .max_flat_workgroup_size: 16
    .name:           _ZN9rocsparseL27gebsr2gebsr_nnz_fast_kernelILi16ELi8EEEvii21rocsparse_index_base_PKiS3_iiiiS1_Piii
    .private_segment_fixed_size: 0
    .sgpr_count:     34
    .sgpr_spill_count: 0
    .symbol:         _ZN9rocsparseL27gebsr2gebsr_nnz_fast_kernelILi16ELi8EEEvii21rocsparse_index_base_PKiS3_iiiiS1_Piii.kd
    .uniform_work_group_size: 1
    .uses_dynamic_stack: false
    .vgpr_count:     16
    .vgpr_spill_count: 0
    .wavefront_size: 64
  - .args:
      - .offset:         0
        .size:           4
        .value_kind:     by_value
      - .offset:         4
        .size:           4
        .value_kind:     by_value
      - .offset:         8
        .size:           4
        .value_kind:     by_value
      - .actual_access:  read_only
        .address_space:  global
        .offset:         16
        .size:           8
        .value_kind:     global_buffer
      - .actual_access:  read_only
        .address_space:  global
        .offset:         24
        .size:           8
        .value_kind:     global_buffer
      - .offset:         32
        .size:           4
        .value_kind:     by_value
      - .offset:         36
        .size:           4
        .value_kind:     by_value
      - .offset:         40
        .size:           4
        .value_kind:     by_value
      - .offset:         44
        .size:           4
        .value_kind:     by_value
      - .offset:         48
        .size:           4
        .value_kind:     by_value
      - .actual_access:  write_only
        .address_space:  global
        .offset:         56
        .size:           8
        .value_kind:     global_buffer
      - .offset:         64
        .size:           4
        .value_kind:     by_value
      - .offset:         68
        .size:           4
        .value_kind:     by_value
    .group_segment_fixed_size: 0
    .kernarg_segment_align: 8
    .kernarg_segment_size: 72
    .language:       OpenCL C
    .language_version:
      - 2
      - 0
    .max_flat_workgroup_size: 16
    .name:           _ZN9rocsparseL27gebsr2gebsr_nnz_fast_kernelILi16ELi16EEEvii21rocsparse_index_base_PKiS3_iiiiS1_Piii
    .private_segment_fixed_size: 0
    .sgpr_count:     36
    .sgpr_spill_count: 0
    .symbol:         _ZN9rocsparseL27gebsr2gebsr_nnz_fast_kernelILi16ELi16EEEvii21rocsparse_index_base_PKiS3_iiiiS1_Piii.kd
    .uniform_work_group_size: 1
    .uses_dynamic_stack: false
    .vgpr_count:     15
    .vgpr_spill_count: 0
    .wavefront_size: 64
  - .args:
      - .offset:         0
        .size:           4
        .value_kind:     by_value
      - .offset:         4
        .size:           4
        .value_kind:     by_value
      - .offset:         8
        .size:           4
        .value_kind:     by_value
      - .actual_access:  read_only
        .address_space:  global
        .offset:         16
        .size:           8
        .value_kind:     global_buffer
      - .actual_access:  read_only
        .address_space:  global
        .offset:         24
        .size:           8
        .value_kind:     global_buffer
      - .offset:         32
        .size:           4
        .value_kind:     by_value
      - .offset:         36
        .size:           4
        .value_kind:     by_value
      - .offset:         40
        .size:           4
        .value_kind:     by_value
      - .offset:         44
        .size:           4
        .value_kind:     by_value
      - .offset:         48
        .size:           4
        .value_kind:     by_value
      - .actual_access:  write_only
        .address_space:  global
        .offset:         56
        .size:           8
        .value_kind:     global_buffer
      - .offset:         64
        .size:           4
        .value_kind:     by_value
      - .offset:         68
        .size:           4
        .value_kind:     by_value
    .group_segment_fixed_size: 0
    .kernarg_segment_align: 8
    .kernarg_segment_size: 72
    .language:       OpenCL C
    .language_version:
      - 2
      - 0
    .max_flat_workgroup_size: 32
    .name:           _ZN9rocsparseL27gebsr2gebsr_nnz_fast_kernelILi32ELi32EEEvii21rocsparse_index_base_PKiS3_iiiiS1_Piii
    .private_segment_fixed_size: 0
    .sgpr_count:     36
    .sgpr_spill_count: 0
    .symbol:         _ZN9rocsparseL27gebsr2gebsr_nnz_fast_kernelILi32ELi32EEEvii21rocsparse_index_base_PKiS3_iiiiS1_Piii.kd
    .uniform_work_group_size: 1
    .uses_dynamic_stack: false
    .vgpr_count:     15
    .vgpr_spill_count: 0
    .wavefront_size: 64
  - .args:
      - .offset:         0
        .size:           4
        .value_kind:     by_value
      - .actual_access:  read_only
        .address_space:  global
        .offset:         8
        .size:           8
        .value_kind:     global_buffer
      - .actual_access:  write_only
        .address_space:  global
        .offset:         16
        .size:           8
        .value_kind:     global_buffer
      - .offset:         24
        .size:           4
        .value_kind:     hidden_block_count_x
      - .offset:         28
        .size:           4
        .value_kind:     hidden_block_count_y
      - .offset:         32
        .size:           4
        .value_kind:     hidden_block_count_z
      - .offset:         36
        .size:           2
        .value_kind:     hidden_group_size_x
      - .offset:         38
        .size:           2
        .value_kind:     hidden_group_size_y
      - .offset:         40
        .size:           2
        .value_kind:     hidden_group_size_z
      - .offset:         42
        .size:           2
        .value_kind:     hidden_remainder_x
      - .offset:         44
        .size:           2
        .value_kind:     hidden_remainder_y
      - .offset:         46
        .size:           2
        .value_kind:     hidden_remainder_z
      - .offset:         64
        .size:           8
        .value_kind:     hidden_global_offset_x
      - .offset:         72
        .size:           8
        .value_kind:     hidden_global_offset_y
      - .offset:         80
        .size:           8
        .value_kind:     hidden_global_offset_z
      - .offset:         88
        .size:           2
        .value_kind:     hidden_grid_dims
    .group_segment_fixed_size: 0
    .kernarg_segment_align: 8
    .kernarg_segment_size: 280
    .language:       OpenCL C
    .language_version:
      - 2
      - 0
    .max_flat_workgroup_size: 1
    .name:           _ZN9rocsparseL36gebsr2gebsr_compute_nnz_total_kernelILj1EEEviPKiPi
    .private_segment_fixed_size: 0
    .sgpr_count:     12
    .sgpr_spill_count: 0
    .symbol:         _ZN9rocsparseL36gebsr2gebsr_compute_nnz_total_kernelILj1EEEviPKiPi.kd
    .uniform_work_group_size: 1
    .uses_dynamic_stack: false
    .vgpr_count:     2
    .vgpr_spill_count: 0
    .wavefront_size: 64
  - .args:
      - .offset:         0
        .size:           4
        .value_kind:     by_value
      - .offset:         4
        .size:           4
        .value_kind:     by_value
      - .offset:         8
        .size:           4
        .value_kind:     by_value
      - .actual_access:  read_only
        .address_space:  global
        .offset:         16
        .size:           8
        .value_kind:     global_buffer
      - .actual_access:  read_only
        .address_space:  global
        .offset:         24
        .size:           8
        .value_kind:     global_buffer
      - .actual_access:  read_only
        .address_space:  global
        .offset:         32
        .size:           8
        .value_kind:     global_buffer
      - .offset:         40
        .size:           4
        .value_kind:     by_value
      - .offset:         44
        .size:           4
        .value_kind:     by_value
      - .offset:         48
        .size:           4
        .value_kind:     by_value
      - .offset:         52
        .size:           4
        .value_kind:     by_value
      - .offset:         56
        .size:           4
        .value_kind:     by_value
      - .actual_access:  write_only
        .address_space:  global
        .offset:         64
        .size:           8
        .value_kind:     global_buffer
      - .actual_access:  read_only
        .address_space:  global
        .offset:         72
        .size:           8
        .value_kind:     global_buffer
      - .actual_access:  write_only
        .address_space:  global
        .offset:         80
        .size:           8
        .value_kind:     global_buffer
      - .offset:         88
        .size:           4
        .value_kind:     by_value
      - .offset:         92
        .size:           4
        .value_kind:     by_value
    .group_segment_fixed_size: 0
    .kernarg_segment_align: 8
    .kernarg_segment_size: 96
    .language:       OpenCL C
    .language_version:
      - 2
      - 0
    .max_flat_workgroup_size: 16
    .name:           _ZN9rocsparseL23gebsr2gebsr_fast_kernelIL20rocsparse_direction_0ELi16ELi2EfEEvii21rocsparse_index_base_PKT2_PKiS7_iiiiS2_PS3_PiS9_ii
    .private_segment_fixed_size: 0
    .sgpr_count:     46
    .sgpr_spill_count: 0
    .symbol:         _ZN9rocsparseL23gebsr2gebsr_fast_kernelIL20rocsparse_direction_0ELi16ELi2EfEEvii21rocsparse_index_base_PKT2_PKiS7_iiiiS2_PS3_PiS9_ii.kd
    .uniform_work_group_size: 1
    .uses_dynamic_stack: false
    .vgpr_count:     22
    .vgpr_spill_count: 0
    .wavefront_size: 64
  - .args:
      - .offset:         0
        .size:           4
        .value_kind:     by_value
      - .offset:         4
        .size:           4
        .value_kind:     by_value
      - .offset:         8
        .size:           4
        .value_kind:     by_value
      - .actual_access:  read_only
        .address_space:  global
        .offset:         16
        .size:           8
        .value_kind:     global_buffer
      - .actual_access:  read_only
        .address_space:  global
        .offset:         24
        .size:           8
        .value_kind:     global_buffer
      - .actual_access:  read_only
        .address_space:  global
        .offset:         32
        .size:           8
        .value_kind:     global_buffer
      - .offset:         40
        .size:           4
        .value_kind:     by_value
      - .offset:         44
        .size:           4
        .value_kind:     by_value
      - .offset:         48
        .size:           4
        .value_kind:     by_value
      - .offset:         52
        .size:           4
        .value_kind:     by_value
      - .offset:         56
        .size:           4
        .value_kind:     by_value
      - .actual_access:  write_only
        .address_space:  global
        .offset:         64
        .size:           8
        .value_kind:     global_buffer
      - .actual_access:  read_only
        .address_space:  global
        .offset:         72
        .size:           8
        .value_kind:     global_buffer
      - .actual_access:  write_only
        .address_space:  global
        .offset:         80
        .size:           8
        .value_kind:     global_buffer
      - .offset:         88
        .size:           4
        .value_kind:     by_value
      - .offset:         92
        .size:           4
        .value_kind:     by_value
    .group_segment_fixed_size: 0
    .kernarg_segment_align: 8
    .kernarg_segment_size: 96
    .language:       OpenCL C
    .language_version:
      - 2
      - 0
    .max_flat_workgroup_size: 16
    .name:           _ZN9rocsparseL23gebsr2gebsr_fast_kernelIL20rocsparse_direction_0ELi16ELi4EfEEvii21rocsparse_index_base_PKT2_PKiS7_iiiiS2_PS3_PiS9_ii
    .private_segment_fixed_size: 0
    .sgpr_count:     46
    .sgpr_spill_count: 0
    .symbol:         _ZN9rocsparseL23gebsr2gebsr_fast_kernelIL20rocsparse_direction_0ELi16ELi4EfEEvii21rocsparse_index_base_PKT2_PKiS7_iiiiS2_PS3_PiS9_ii.kd
    .uniform_work_group_size: 1
    .uses_dynamic_stack: false
    .vgpr_count:     22
    .vgpr_spill_count: 0
    .wavefront_size: 64
  - .args:
      - .offset:         0
        .size:           4
        .value_kind:     by_value
      - .offset:         4
        .size:           4
        .value_kind:     by_value
      - .offset:         8
        .size:           4
        .value_kind:     by_value
      - .actual_access:  read_only
        .address_space:  global
        .offset:         16
        .size:           8
        .value_kind:     global_buffer
      - .actual_access:  read_only
        .address_space:  global
        .offset:         24
        .size:           8
        .value_kind:     global_buffer
      - .actual_access:  read_only
        .address_space:  global
        .offset:         32
        .size:           8
        .value_kind:     global_buffer
      - .offset:         40
        .size:           4
        .value_kind:     by_value
      - .offset:         44
        .size:           4
        .value_kind:     by_value
      - .offset:         48
        .size:           4
        .value_kind:     by_value
      - .offset:         52
        .size:           4
        .value_kind:     by_value
      - .offset:         56
        .size:           4
        .value_kind:     by_value
      - .actual_access:  write_only
        .address_space:  global
        .offset:         64
        .size:           8
        .value_kind:     global_buffer
      - .actual_access:  read_only
        .address_space:  global
        .offset:         72
        .size:           8
        .value_kind:     global_buffer
      - .actual_access:  write_only
        .address_space:  global
        .offset:         80
        .size:           8
        .value_kind:     global_buffer
      - .offset:         88
        .size:           4
        .value_kind:     by_value
      - .offset:         92
        .size:           4
        .value_kind:     by_value
    .group_segment_fixed_size: 0
    .kernarg_segment_align: 8
    .kernarg_segment_size: 96
    .language:       OpenCL C
    .language_version:
      - 2
      - 0
    .max_flat_workgroup_size: 16
    .name:           _ZN9rocsparseL23gebsr2gebsr_fast_kernelIL20rocsparse_direction_0ELi16ELi8EfEEvii21rocsparse_index_base_PKT2_PKiS7_iiiiS2_PS3_PiS9_ii
    .private_segment_fixed_size: 0
    .sgpr_count:     46
    .sgpr_spill_count: 0
    .symbol:         _ZN9rocsparseL23gebsr2gebsr_fast_kernelIL20rocsparse_direction_0ELi16ELi8EfEEvii21rocsparse_index_base_PKT2_PKiS7_iiiiS2_PS3_PiS9_ii.kd
    .uniform_work_group_size: 1
    .uses_dynamic_stack: false
    .vgpr_count:     22
    .vgpr_spill_count: 0
    .wavefront_size: 64
  - .args:
      - .offset:         0
        .size:           4
        .value_kind:     by_value
      - .offset:         4
        .size:           4
        .value_kind:     by_value
      - .offset:         8
        .size:           4
        .value_kind:     by_value
      - .actual_access:  read_only
        .address_space:  global
        .offset:         16
        .size:           8
        .value_kind:     global_buffer
      - .actual_access:  read_only
        .address_space:  global
        .offset:         24
        .size:           8
        .value_kind:     global_buffer
      - .actual_access:  read_only
        .address_space:  global
        .offset:         32
        .size:           8
        .value_kind:     global_buffer
      - .offset:         40
        .size:           4
        .value_kind:     by_value
      - .offset:         44
        .size:           4
        .value_kind:     by_value
      - .offset:         48
        .size:           4
        .value_kind:     by_value
      - .offset:         52
        .size:           4
        .value_kind:     by_value
      - .offset:         56
        .size:           4
        .value_kind:     by_value
      - .actual_access:  write_only
        .address_space:  global
        .offset:         64
        .size:           8
        .value_kind:     global_buffer
      - .actual_access:  read_only
        .address_space:  global
        .offset:         72
        .size:           8
        .value_kind:     global_buffer
      - .actual_access:  write_only
        .address_space:  global
        .offset:         80
        .size:           8
        .value_kind:     global_buffer
      - .offset:         88
        .size:           4
        .value_kind:     by_value
      - .offset:         92
        .size:           4
        .value_kind:     by_value
    .group_segment_fixed_size: 0
    .kernarg_segment_align: 8
    .kernarg_segment_size: 96
    .language:       OpenCL C
    .language_version:
      - 2
      - 0
    .max_flat_workgroup_size: 16
    .name:           _ZN9rocsparseL23gebsr2gebsr_fast_kernelIL20rocsparse_direction_0ELi16ELi16EfEEvii21rocsparse_index_base_PKT2_PKiS7_iiiiS2_PS3_PiS9_ii
    .private_segment_fixed_size: 0
    .sgpr_count:     48
    .sgpr_spill_count: 0
    .symbol:         _ZN9rocsparseL23gebsr2gebsr_fast_kernelIL20rocsparse_direction_0ELi16ELi16EfEEvii21rocsparse_index_base_PKT2_PKiS7_iiiiS2_PS3_PiS9_ii.kd
    .uniform_work_group_size: 1
    .uses_dynamic_stack: false
    .vgpr_count:     20
    .vgpr_spill_count: 0
    .wavefront_size: 64
  - .args:
      - .offset:         0
        .size:           4
        .value_kind:     by_value
      - .offset:         4
        .size:           4
        .value_kind:     by_value
      - .offset:         8
        .size:           4
        .value_kind:     by_value
      - .actual_access:  read_only
        .address_space:  global
        .offset:         16
        .size:           8
        .value_kind:     global_buffer
      - .actual_access:  read_only
        .address_space:  global
        .offset:         24
        .size:           8
        .value_kind:     global_buffer
      - .actual_access:  read_only
        .address_space:  global
        .offset:         32
        .size:           8
        .value_kind:     global_buffer
      - .offset:         40
        .size:           4
        .value_kind:     by_value
      - .offset:         44
        .size:           4
        .value_kind:     by_value
      - .offset:         48
        .size:           4
        .value_kind:     by_value
      - .offset:         52
        .size:           4
        .value_kind:     by_value
      - .offset:         56
        .size:           4
        .value_kind:     by_value
      - .actual_access:  write_only
        .address_space:  global
        .offset:         64
        .size:           8
        .value_kind:     global_buffer
      - .actual_access:  read_only
        .address_space:  global
        .offset:         72
        .size:           8
        .value_kind:     global_buffer
      - .actual_access:  write_only
        .address_space:  global
        .offset:         80
        .size:           8
        .value_kind:     global_buffer
      - .offset:         88
        .size:           4
        .value_kind:     by_value
      - .offset:         92
        .size:           4
        .value_kind:     by_value
    .group_segment_fixed_size: 0
    .kernarg_segment_align: 8
    .kernarg_segment_size: 96
    .language:       OpenCL C
    .language_version:
      - 2
      - 0
    .max_flat_workgroup_size: 32
    .name:           _ZN9rocsparseL23gebsr2gebsr_fast_kernelIL20rocsparse_direction_0ELi32ELi32EfEEvii21rocsparse_index_base_PKT2_PKiS7_iiiiS2_PS3_PiS9_ii
    .private_segment_fixed_size: 0
    .sgpr_count:     48
    .sgpr_spill_count: 0
    .symbol:         _ZN9rocsparseL23gebsr2gebsr_fast_kernelIL20rocsparse_direction_0ELi32ELi32EfEEvii21rocsparse_index_base_PKT2_PKiS7_iiiiS2_PS3_PiS9_ii.kd
    .uniform_work_group_size: 1
    .uses_dynamic_stack: false
    .vgpr_count:     20
    .vgpr_spill_count: 0
    .wavefront_size: 64
  - .args:
      - .offset:         0
        .size:           4
        .value_kind:     by_value
      - .offset:         4
        .size:           4
        .value_kind:     by_value
      - .offset:         8
        .size:           4
        .value_kind:     by_value
      - .actual_access:  read_only
        .address_space:  global
        .offset:         16
        .size:           8
        .value_kind:     global_buffer
      - .actual_access:  read_only
        .address_space:  global
        .offset:         24
        .size:           8
        .value_kind:     global_buffer
      - .actual_access:  read_only
        .address_space:  global
        .offset:         32
        .size:           8
        .value_kind:     global_buffer
      - .offset:         40
        .size:           4
        .value_kind:     by_value
      - .offset:         44
        .size:           4
        .value_kind:     by_value
      - .offset:         48
        .size:           4
        .value_kind:     by_value
      - .offset:         52
        .size:           4
        .value_kind:     by_value
      - .offset:         56
        .size:           4
        .value_kind:     by_value
      - .actual_access:  write_only
        .address_space:  global
        .offset:         64
        .size:           8
        .value_kind:     global_buffer
      - .actual_access:  read_only
        .address_space:  global
        .offset:         72
        .size:           8
        .value_kind:     global_buffer
      - .actual_access:  write_only
        .address_space:  global
        .offset:         80
        .size:           8
        .value_kind:     global_buffer
      - .offset:         88
        .size:           4
        .value_kind:     by_value
      - .offset:         92
        .size:           4
        .value_kind:     by_value
    .group_segment_fixed_size: 0
    .kernarg_segment_align: 8
    .kernarg_segment_size: 96
    .language:       OpenCL C
    .language_version:
      - 2
      - 0
    .max_flat_workgroup_size: 16
    .name:           _ZN9rocsparseL23gebsr2gebsr_fast_kernelIL20rocsparse_direction_1ELi16ELi2EfEEvii21rocsparse_index_base_PKT2_PKiS7_iiiiS2_PS3_PiS9_ii
    .private_segment_fixed_size: 0
    .sgpr_count:     46
    .sgpr_spill_count: 0
    .symbol:         _ZN9rocsparseL23gebsr2gebsr_fast_kernelIL20rocsparse_direction_1ELi16ELi2EfEEvii21rocsparse_index_base_PKT2_PKiS7_iiiiS2_PS3_PiS9_ii.kd
    .uniform_work_group_size: 1
    .uses_dynamic_stack: false
    .vgpr_count:     22
    .vgpr_spill_count: 0
    .wavefront_size: 64
  - .args:
      - .offset:         0
        .size:           4
        .value_kind:     by_value
      - .offset:         4
        .size:           4
        .value_kind:     by_value
      - .offset:         8
        .size:           4
        .value_kind:     by_value
      - .actual_access:  read_only
        .address_space:  global
        .offset:         16
        .size:           8
        .value_kind:     global_buffer
      - .actual_access:  read_only
        .address_space:  global
        .offset:         24
        .size:           8
        .value_kind:     global_buffer
      - .actual_access:  read_only
        .address_space:  global
        .offset:         32
        .size:           8
        .value_kind:     global_buffer
      - .offset:         40
        .size:           4
        .value_kind:     by_value
      - .offset:         44
        .size:           4
        .value_kind:     by_value
      - .offset:         48
        .size:           4
        .value_kind:     by_value
      - .offset:         52
        .size:           4
        .value_kind:     by_value
      - .offset:         56
        .size:           4
        .value_kind:     by_value
      - .actual_access:  write_only
        .address_space:  global
        .offset:         64
        .size:           8
        .value_kind:     global_buffer
      - .actual_access:  read_only
        .address_space:  global
        .offset:         72
        .size:           8
        .value_kind:     global_buffer
      - .actual_access:  write_only
        .address_space:  global
        .offset:         80
        .size:           8
        .value_kind:     global_buffer
      - .offset:         88
        .size:           4
        .value_kind:     by_value
      - .offset:         92
        .size:           4
        .value_kind:     by_value
    .group_segment_fixed_size: 0
    .kernarg_segment_align: 8
    .kernarg_segment_size: 96
    .language:       OpenCL C
    .language_version:
      - 2
      - 0
    .max_flat_workgroup_size: 16
    .name:           _ZN9rocsparseL23gebsr2gebsr_fast_kernelIL20rocsparse_direction_1ELi16ELi4EfEEvii21rocsparse_index_base_PKT2_PKiS7_iiiiS2_PS3_PiS9_ii
    .private_segment_fixed_size: 0
    .sgpr_count:     46
    .sgpr_spill_count: 0
    .symbol:         _ZN9rocsparseL23gebsr2gebsr_fast_kernelIL20rocsparse_direction_1ELi16ELi4EfEEvii21rocsparse_index_base_PKT2_PKiS7_iiiiS2_PS3_PiS9_ii.kd
    .uniform_work_group_size: 1
    .uses_dynamic_stack: false
    .vgpr_count:     22
    .vgpr_spill_count: 0
    .wavefront_size: 64
  - .args:
      - .offset:         0
        .size:           4
        .value_kind:     by_value
      - .offset:         4
        .size:           4
        .value_kind:     by_value
      - .offset:         8
        .size:           4
        .value_kind:     by_value
      - .actual_access:  read_only
        .address_space:  global
        .offset:         16
        .size:           8
        .value_kind:     global_buffer
      - .actual_access:  read_only
        .address_space:  global
        .offset:         24
        .size:           8
        .value_kind:     global_buffer
      - .actual_access:  read_only
        .address_space:  global
        .offset:         32
        .size:           8
        .value_kind:     global_buffer
      - .offset:         40
        .size:           4
        .value_kind:     by_value
      - .offset:         44
        .size:           4
        .value_kind:     by_value
      - .offset:         48
        .size:           4
        .value_kind:     by_value
      - .offset:         52
        .size:           4
        .value_kind:     by_value
      - .offset:         56
        .size:           4
        .value_kind:     by_value
      - .actual_access:  write_only
        .address_space:  global
        .offset:         64
        .size:           8
        .value_kind:     global_buffer
      - .actual_access:  read_only
        .address_space:  global
        .offset:         72
        .size:           8
        .value_kind:     global_buffer
      - .actual_access:  write_only
        .address_space:  global
        .offset:         80
        .size:           8
        .value_kind:     global_buffer
      - .offset:         88
        .size:           4
        .value_kind:     by_value
      - .offset:         92
        .size:           4
        .value_kind:     by_value
    .group_segment_fixed_size: 0
    .kernarg_segment_align: 8
    .kernarg_segment_size: 96
    .language:       OpenCL C
    .language_version:
      - 2
      - 0
    .max_flat_workgroup_size: 16
    .name:           _ZN9rocsparseL23gebsr2gebsr_fast_kernelIL20rocsparse_direction_1ELi16ELi8EfEEvii21rocsparse_index_base_PKT2_PKiS7_iiiiS2_PS3_PiS9_ii
    .private_segment_fixed_size: 0
    .sgpr_count:     46
    .sgpr_spill_count: 0
    .symbol:         _ZN9rocsparseL23gebsr2gebsr_fast_kernelIL20rocsparse_direction_1ELi16ELi8EfEEvii21rocsparse_index_base_PKT2_PKiS7_iiiiS2_PS3_PiS9_ii.kd
    .uniform_work_group_size: 1
    .uses_dynamic_stack: false
    .vgpr_count:     22
    .vgpr_spill_count: 0
    .wavefront_size: 64
  - .args:
      - .offset:         0
        .size:           4
        .value_kind:     by_value
      - .offset:         4
        .size:           4
        .value_kind:     by_value
      - .offset:         8
        .size:           4
        .value_kind:     by_value
      - .actual_access:  read_only
        .address_space:  global
        .offset:         16
        .size:           8
        .value_kind:     global_buffer
      - .actual_access:  read_only
        .address_space:  global
        .offset:         24
        .size:           8
        .value_kind:     global_buffer
      - .actual_access:  read_only
        .address_space:  global
        .offset:         32
        .size:           8
        .value_kind:     global_buffer
      - .offset:         40
        .size:           4
        .value_kind:     by_value
      - .offset:         44
        .size:           4
        .value_kind:     by_value
      - .offset:         48
        .size:           4
        .value_kind:     by_value
      - .offset:         52
        .size:           4
        .value_kind:     by_value
      - .offset:         56
        .size:           4
        .value_kind:     by_value
      - .actual_access:  write_only
        .address_space:  global
        .offset:         64
        .size:           8
        .value_kind:     global_buffer
      - .actual_access:  read_only
        .address_space:  global
        .offset:         72
        .size:           8
        .value_kind:     global_buffer
      - .actual_access:  write_only
        .address_space:  global
        .offset:         80
        .size:           8
        .value_kind:     global_buffer
      - .offset:         88
        .size:           4
        .value_kind:     by_value
      - .offset:         92
        .size:           4
        .value_kind:     by_value
    .group_segment_fixed_size: 0
    .kernarg_segment_align: 8
    .kernarg_segment_size: 96
    .language:       OpenCL C
    .language_version:
      - 2
      - 0
    .max_flat_workgroup_size: 16
    .name:           _ZN9rocsparseL23gebsr2gebsr_fast_kernelIL20rocsparse_direction_1ELi16ELi16EfEEvii21rocsparse_index_base_PKT2_PKiS7_iiiiS2_PS3_PiS9_ii
    .private_segment_fixed_size: 0
    .sgpr_count:     48
    .sgpr_spill_count: 0
    .symbol:         _ZN9rocsparseL23gebsr2gebsr_fast_kernelIL20rocsparse_direction_1ELi16ELi16EfEEvii21rocsparse_index_base_PKT2_PKiS7_iiiiS2_PS3_PiS9_ii.kd
    .uniform_work_group_size: 1
    .uses_dynamic_stack: false
    .vgpr_count:     20
    .vgpr_spill_count: 0
    .wavefront_size: 64
  - .args:
      - .offset:         0
        .size:           4
        .value_kind:     by_value
      - .offset:         4
        .size:           4
        .value_kind:     by_value
      - .offset:         8
        .size:           4
        .value_kind:     by_value
      - .actual_access:  read_only
        .address_space:  global
        .offset:         16
        .size:           8
        .value_kind:     global_buffer
      - .actual_access:  read_only
        .address_space:  global
        .offset:         24
        .size:           8
        .value_kind:     global_buffer
      - .actual_access:  read_only
        .address_space:  global
        .offset:         32
        .size:           8
        .value_kind:     global_buffer
      - .offset:         40
        .size:           4
        .value_kind:     by_value
      - .offset:         44
        .size:           4
        .value_kind:     by_value
      - .offset:         48
        .size:           4
        .value_kind:     by_value
      - .offset:         52
        .size:           4
        .value_kind:     by_value
      - .offset:         56
        .size:           4
        .value_kind:     by_value
      - .actual_access:  write_only
        .address_space:  global
        .offset:         64
        .size:           8
        .value_kind:     global_buffer
      - .actual_access:  read_only
        .address_space:  global
        .offset:         72
        .size:           8
        .value_kind:     global_buffer
      - .actual_access:  write_only
        .address_space:  global
        .offset:         80
        .size:           8
        .value_kind:     global_buffer
      - .offset:         88
        .size:           4
        .value_kind:     by_value
      - .offset:         92
        .size:           4
        .value_kind:     by_value
    .group_segment_fixed_size: 0
    .kernarg_segment_align: 8
    .kernarg_segment_size: 96
    .language:       OpenCL C
    .language_version:
      - 2
      - 0
    .max_flat_workgroup_size: 32
    .name:           _ZN9rocsparseL23gebsr2gebsr_fast_kernelIL20rocsparse_direction_1ELi32ELi32EfEEvii21rocsparse_index_base_PKT2_PKiS7_iiiiS2_PS3_PiS9_ii
    .private_segment_fixed_size: 0
    .sgpr_count:     48
    .sgpr_spill_count: 0
    .symbol:         _ZN9rocsparseL23gebsr2gebsr_fast_kernelIL20rocsparse_direction_1ELi32ELi32EfEEvii21rocsparse_index_base_PKT2_PKiS7_iiiiS2_PS3_PiS9_ii.kd
    .uniform_work_group_size: 1
    .uses_dynamic_stack: false
    .vgpr_count:     20
    .vgpr_spill_count: 0
    .wavefront_size: 64
  - .args:
      - .offset:         0
        .size:           4
        .value_kind:     by_value
      - .offset:         4
        .size:           4
        .value_kind:     by_value
      - .offset:         8
        .size:           4
        .value_kind:     by_value
      - .actual_access:  read_only
        .address_space:  global
        .offset:         16
        .size:           8
        .value_kind:     global_buffer
      - .actual_access:  read_only
        .address_space:  global
        .offset:         24
        .size:           8
        .value_kind:     global_buffer
      - .actual_access:  read_only
        .address_space:  global
        .offset:         32
        .size:           8
        .value_kind:     global_buffer
      - .offset:         40
        .size:           4
        .value_kind:     by_value
      - .offset:         44
        .size:           4
        .value_kind:     by_value
      - .offset:         48
        .size:           4
        .value_kind:     by_value
      - .offset:         52
        .size:           4
        .value_kind:     by_value
      - .offset:         56
        .size:           4
        .value_kind:     by_value
      - .actual_access:  write_only
        .address_space:  global
        .offset:         64
        .size:           8
        .value_kind:     global_buffer
      - .actual_access:  read_only
        .address_space:  global
        .offset:         72
        .size:           8
        .value_kind:     global_buffer
      - .actual_access:  write_only
        .address_space:  global
        .offset:         80
        .size:           8
        .value_kind:     global_buffer
      - .offset:         88
        .size:           4
        .value_kind:     by_value
      - .offset:         92
        .size:           4
        .value_kind:     by_value
    .group_segment_fixed_size: 0
    .kernarg_segment_align: 8
    .kernarg_segment_size: 96
    .language:       OpenCL C
    .language_version:
      - 2
      - 0
    .max_flat_workgroup_size: 16
    .name:           _ZN9rocsparseL23gebsr2gebsr_fast_kernelIL20rocsparse_direction_0ELi16ELi2EdEEvii21rocsparse_index_base_PKT2_PKiS7_iiiiS2_PS3_PiS9_ii
    .private_segment_fixed_size: 0
    .sgpr_count:     46
    .sgpr_spill_count: 0
    .symbol:         _ZN9rocsparseL23gebsr2gebsr_fast_kernelIL20rocsparse_direction_0ELi16ELi2EdEEvii21rocsparse_index_base_PKT2_PKiS7_iiiiS2_PS3_PiS9_ii.kd
    .uniform_work_group_size: 1
    .uses_dynamic_stack: false
    .vgpr_count:     23
    .vgpr_spill_count: 0
    .wavefront_size: 64
  - .args:
      - .offset:         0
        .size:           4
        .value_kind:     by_value
      - .offset:         4
        .size:           4
        .value_kind:     by_value
      - .offset:         8
        .size:           4
        .value_kind:     by_value
      - .actual_access:  read_only
        .address_space:  global
        .offset:         16
        .size:           8
        .value_kind:     global_buffer
      - .actual_access:  read_only
        .address_space:  global
        .offset:         24
        .size:           8
        .value_kind:     global_buffer
      - .actual_access:  read_only
        .address_space:  global
        .offset:         32
        .size:           8
        .value_kind:     global_buffer
      - .offset:         40
        .size:           4
        .value_kind:     by_value
      - .offset:         44
        .size:           4
        .value_kind:     by_value
      - .offset:         48
        .size:           4
        .value_kind:     by_value
      - .offset:         52
        .size:           4
        .value_kind:     by_value
      - .offset:         56
        .size:           4
        .value_kind:     by_value
      - .actual_access:  write_only
        .address_space:  global
        .offset:         64
        .size:           8
        .value_kind:     global_buffer
      - .actual_access:  read_only
        .address_space:  global
        .offset:         72
        .size:           8
        .value_kind:     global_buffer
      - .actual_access:  write_only
        .address_space:  global
        .offset:         80
        .size:           8
        .value_kind:     global_buffer
      - .offset:         88
        .size:           4
        .value_kind:     by_value
      - .offset:         92
        .size:           4
        .value_kind:     by_value
    .group_segment_fixed_size: 0
    .kernarg_segment_align: 8
    .kernarg_segment_size: 96
    .language:       OpenCL C
    .language_version:
      - 2
      - 0
    .max_flat_workgroup_size: 16
    .name:           _ZN9rocsparseL23gebsr2gebsr_fast_kernelIL20rocsparse_direction_0ELi16ELi4EdEEvii21rocsparse_index_base_PKT2_PKiS7_iiiiS2_PS3_PiS9_ii
    .private_segment_fixed_size: 0
    .sgpr_count:     46
    .sgpr_spill_count: 0
    .symbol:         _ZN9rocsparseL23gebsr2gebsr_fast_kernelIL20rocsparse_direction_0ELi16ELi4EdEEvii21rocsparse_index_base_PKT2_PKiS7_iiiiS2_PS3_PiS9_ii.kd
    .uniform_work_group_size: 1
    .uses_dynamic_stack: false
    .vgpr_count:     23
    .vgpr_spill_count: 0
    .wavefront_size: 64
  - .args:
      - .offset:         0
        .size:           4
        .value_kind:     by_value
      - .offset:         4
        .size:           4
        .value_kind:     by_value
      - .offset:         8
        .size:           4
        .value_kind:     by_value
      - .actual_access:  read_only
        .address_space:  global
        .offset:         16
        .size:           8
        .value_kind:     global_buffer
      - .actual_access:  read_only
        .address_space:  global
        .offset:         24
        .size:           8
        .value_kind:     global_buffer
      - .actual_access:  read_only
        .address_space:  global
        .offset:         32
        .size:           8
        .value_kind:     global_buffer
      - .offset:         40
        .size:           4
        .value_kind:     by_value
      - .offset:         44
        .size:           4
        .value_kind:     by_value
      - .offset:         48
        .size:           4
        .value_kind:     by_value
      - .offset:         52
        .size:           4
        .value_kind:     by_value
      - .offset:         56
        .size:           4
        .value_kind:     by_value
      - .actual_access:  write_only
        .address_space:  global
        .offset:         64
        .size:           8
        .value_kind:     global_buffer
      - .actual_access:  read_only
        .address_space:  global
        .offset:         72
        .size:           8
        .value_kind:     global_buffer
      - .actual_access:  write_only
        .address_space:  global
        .offset:         80
        .size:           8
        .value_kind:     global_buffer
      - .offset:         88
        .size:           4
        .value_kind:     by_value
      - .offset:         92
        .size:           4
        .value_kind:     by_value
    .group_segment_fixed_size: 0
    .kernarg_segment_align: 8
    .kernarg_segment_size: 96
    .language:       OpenCL C
    .language_version:
      - 2
      - 0
    .max_flat_workgroup_size: 16
    .name:           _ZN9rocsparseL23gebsr2gebsr_fast_kernelIL20rocsparse_direction_0ELi16ELi8EdEEvii21rocsparse_index_base_PKT2_PKiS7_iiiiS2_PS3_PiS9_ii
    .private_segment_fixed_size: 0
    .sgpr_count:     46
    .sgpr_spill_count: 0
    .symbol:         _ZN9rocsparseL23gebsr2gebsr_fast_kernelIL20rocsparse_direction_0ELi16ELi8EdEEvii21rocsparse_index_base_PKT2_PKiS7_iiiiS2_PS3_PiS9_ii.kd
    .uniform_work_group_size: 1
    .uses_dynamic_stack: false
    .vgpr_count:     23
    .vgpr_spill_count: 0
    .wavefront_size: 64
  - .args:
      - .offset:         0
        .size:           4
        .value_kind:     by_value
      - .offset:         4
        .size:           4
        .value_kind:     by_value
      - .offset:         8
        .size:           4
        .value_kind:     by_value
      - .actual_access:  read_only
        .address_space:  global
        .offset:         16
        .size:           8
        .value_kind:     global_buffer
      - .actual_access:  read_only
        .address_space:  global
        .offset:         24
        .size:           8
        .value_kind:     global_buffer
      - .actual_access:  read_only
        .address_space:  global
        .offset:         32
        .size:           8
        .value_kind:     global_buffer
      - .offset:         40
        .size:           4
        .value_kind:     by_value
      - .offset:         44
        .size:           4
        .value_kind:     by_value
      - .offset:         48
        .size:           4
        .value_kind:     by_value
      - .offset:         52
        .size:           4
        .value_kind:     by_value
      - .offset:         56
        .size:           4
        .value_kind:     by_value
      - .actual_access:  write_only
        .address_space:  global
        .offset:         64
        .size:           8
        .value_kind:     global_buffer
      - .actual_access:  read_only
        .address_space:  global
        .offset:         72
        .size:           8
        .value_kind:     global_buffer
      - .actual_access:  write_only
        .address_space:  global
        .offset:         80
        .size:           8
        .value_kind:     global_buffer
      - .offset:         88
        .size:           4
        .value_kind:     by_value
      - .offset:         92
        .size:           4
        .value_kind:     by_value
    .group_segment_fixed_size: 0
    .kernarg_segment_align: 8
    .kernarg_segment_size: 96
    .language:       OpenCL C
    .language_version:
      - 2
      - 0
    .max_flat_workgroup_size: 16
    .name:           _ZN9rocsparseL23gebsr2gebsr_fast_kernelIL20rocsparse_direction_0ELi16ELi16EdEEvii21rocsparse_index_base_PKT2_PKiS7_iiiiS2_PS3_PiS9_ii
    .private_segment_fixed_size: 0
    .sgpr_count:     48
    .sgpr_spill_count: 0
    .symbol:         _ZN9rocsparseL23gebsr2gebsr_fast_kernelIL20rocsparse_direction_0ELi16ELi16EdEEvii21rocsparse_index_base_PKT2_PKiS7_iiiiS2_PS3_PiS9_ii.kd
    .uniform_work_group_size: 1
    .uses_dynamic_stack: false
    .vgpr_count:     21
    .vgpr_spill_count: 0
    .wavefront_size: 64
  - .args:
      - .offset:         0
        .size:           4
        .value_kind:     by_value
      - .offset:         4
        .size:           4
        .value_kind:     by_value
      - .offset:         8
        .size:           4
        .value_kind:     by_value
      - .actual_access:  read_only
        .address_space:  global
        .offset:         16
        .size:           8
        .value_kind:     global_buffer
      - .actual_access:  read_only
        .address_space:  global
        .offset:         24
        .size:           8
        .value_kind:     global_buffer
      - .actual_access:  read_only
        .address_space:  global
        .offset:         32
        .size:           8
        .value_kind:     global_buffer
      - .offset:         40
        .size:           4
        .value_kind:     by_value
      - .offset:         44
        .size:           4
        .value_kind:     by_value
      - .offset:         48
        .size:           4
        .value_kind:     by_value
      - .offset:         52
        .size:           4
        .value_kind:     by_value
      - .offset:         56
        .size:           4
        .value_kind:     by_value
      - .actual_access:  write_only
        .address_space:  global
        .offset:         64
        .size:           8
        .value_kind:     global_buffer
      - .actual_access:  read_only
        .address_space:  global
        .offset:         72
        .size:           8
        .value_kind:     global_buffer
      - .actual_access:  write_only
        .address_space:  global
        .offset:         80
        .size:           8
        .value_kind:     global_buffer
      - .offset:         88
        .size:           4
        .value_kind:     by_value
      - .offset:         92
        .size:           4
        .value_kind:     by_value
    .group_segment_fixed_size: 0
    .kernarg_segment_align: 8
    .kernarg_segment_size: 96
    .language:       OpenCL C
    .language_version:
      - 2
      - 0
    .max_flat_workgroup_size: 32
    .name:           _ZN9rocsparseL23gebsr2gebsr_fast_kernelIL20rocsparse_direction_0ELi32ELi32EdEEvii21rocsparse_index_base_PKT2_PKiS7_iiiiS2_PS3_PiS9_ii
    .private_segment_fixed_size: 0
    .sgpr_count:     48
    .sgpr_spill_count: 0
    .symbol:         _ZN9rocsparseL23gebsr2gebsr_fast_kernelIL20rocsparse_direction_0ELi32ELi32EdEEvii21rocsparse_index_base_PKT2_PKiS7_iiiiS2_PS3_PiS9_ii.kd
    .uniform_work_group_size: 1
    .uses_dynamic_stack: false
    .vgpr_count:     21
    .vgpr_spill_count: 0
    .wavefront_size: 64
  - .args:
      - .offset:         0
        .size:           4
        .value_kind:     by_value
      - .offset:         4
        .size:           4
        .value_kind:     by_value
      - .offset:         8
        .size:           4
        .value_kind:     by_value
      - .actual_access:  read_only
        .address_space:  global
        .offset:         16
        .size:           8
        .value_kind:     global_buffer
      - .actual_access:  read_only
        .address_space:  global
        .offset:         24
        .size:           8
        .value_kind:     global_buffer
      - .actual_access:  read_only
        .address_space:  global
        .offset:         32
        .size:           8
        .value_kind:     global_buffer
      - .offset:         40
        .size:           4
        .value_kind:     by_value
      - .offset:         44
        .size:           4
        .value_kind:     by_value
      - .offset:         48
        .size:           4
        .value_kind:     by_value
      - .offset:         52
        .size:           4
        .value_kind:     by_value
      - .offset:         56
        .size:           4
        .value_kind:     by_value
      - .actual_access:  write_only
        .address_space:  global
        .offset:         64
        .size:           8
        .value_kind:     global_buffer
      - .actual_access:  read_only
        .address_space:  global
        .offset:         72
        .size:           8
        .value_kind:     global_buffer
      - .actual_access:  write_only
        .address_space:  global
        .offset:         80
        .size:           8
        .value_kind:     global_buffer
      - .offset:         88
        .size:           4
        .value_kind:     by_value
      - .offset:         92
        .size:           4
        .value_kind:     by_value
    .group_segment_fixed_size: 0
    .kernarg_segment_align: 8
    .kernarg_segment_size: 96
    .language:       OpenCL C
    .language_version:
      - 2
      - 0
    .max_flat_workgroup_size: 16
    .name:           _ZN9rocsparseL23gebsr2gebsr_fast_kernelIL20rocsparse_direction_1ELi16ELi2EdEEvii21rocsparse_index_base_PKT2_PKiS7_iiiiS2_PS3_PiS9_ii
    .private_segment_fixed_size: 0
    .sgpr_count:     46
    .sgpr_spill_count: 0
    .symbol:         _ZN9rocsparseL23gebsr2gebsr_fast_kernelIL20rocsparse_direction_1ELi16ELi2EdEEvii21rocsparse_index_base_PKT2_PKiS7_iiiiS2_PS3_PiS9_ii.kd
    .uniform_work_group_size: 1
    .uses_dynamic_stack: false
    .vgpr_count:     23
    .vgpr_spill_count: 0
    .wavefront_size: 64
  - .args:
      - .offset:         0
        .size:           4
        .value_kind:     by_value
      - .offset:         4
        .size:           4
        .value_kind:     by_value
      - .offset:         8
        .size:           4
        .value_kind:     by_value
      - .actual_access:  read_only
        .address_space:  global
        .offset:         16
        .size:           8
        .value_kind:     global_buffer
      - .actual_access:  read_only
        .address_space:  global
        .offset:         24
        .size:           8
        .value_kind:     global_buffer
      - .actual_access:  read_only
        .address_space:  global
        .offset:         32
        .size:           8
        .value_kind:     global_buffer
      - .offset:         40
        .size:           4
        .value_kind:     by_value
      - .offset:         44
        .size:           4
        .value_kind:     by_value
      - .offset:         48
        .size:           4
        .value_kind:     by_value
      - .offset:         52
        .size:           4
        .value_kind:     by_value
      - .offset:         56
        .size:           4
        .value_kind:     by_value
      - .actual_access:  write_only
        .address_space:  global
        .offset:         64
        .size:           8
        .value_kind:     global_buffer
      - .actual_access:  read_only
        .address_space:  global
        .offset:         72
        .size:           8
        .value_kind:     global_buffer
      - .actual_access:  write_only
        .address_space:  global
        .offset:         80
        .size:           8
        .value_kind:     global_buffer
      - .offset:         88
        .size:           4
        .value_kind:     by_value
      - .offset:         92
        .size:           4
        .value_kind:     by_value
    .group_segment_fixed_size: 0
    .kernarg_segment_align: 8
    .kernarg_segment_size: 96
    .language:       OpenCL C
    .language_version:
      - 2
      - 0
    .max_flat_workgroup_size: 16
    .name:           _ZN9rocsparseL23gebsr2gebsr_fast_kernelIL20rocsparse_direction_1ELi16ELi4EdEEvii21rocsparse_index_base_PKT2_PKiS7_iiiiS2_PS3_PiS9_ii
    .private_segment_fixed_size: 0
    .sgpr_count:     46
    .sgpr_spill_count: 0
    .symbol:         _ZN9rocsparseL23gebsr2gebsr_fast_kernelIL20rocsparse_direction_1ELi16ELi4EdEEvii21rocsparse_index_base_PKT2_PKiS7_iiiiS2_PS3_PiS9_ii.kd
    .uniform_work_group_size: 1
    .uses_dynamic_stack: false
    .vgpr_count:     23
    .vgpr_spill_count: 0
    .wavefront_size: 64
  - .args:
      - .offset:         0
        .size:           4
        .value_kind:     by_value
      - .offset:         4
        .size:           4
        .value_kind:     by_value
      - .offset:         8
        .size:           4
        .value_kind:     by_value
      - .actual_access:  read_only
        .address_space:  global
        .offset:         16
        .size:           8
        .value_kind:     global_buffer
      - .actual_access:  read_only
        .address_space:  global
        .offset:         24
        .size:           8
        .value_kind:     global_buffer
      - .actual_access:  read_only
        .address_space:  global
        .offset:         32
        .size:           8
        .value_kind:     global_buffer
      - .offset:         40
        .size:           4
        .value_kind:     by_value
      - .offset:         44
        .size:           4
        .value_kind:     by_value
      - .offset:         48
        .size:           4
        .value_kind:     by_value
      - .offset:         52
        .size:           4
        .value_kind:     by_value
      - .offset:         56
        .size:           4
        .value_kind:     by_value
      - .actual_access:  write_only
        .address_space:  global
        .offset:         64
        .size:           8
        .value_kind:     global_buffer
      - .actual_access:  read_only
        .address_space:  global
        .offset:         72
        .size:           8
        .value_kind:     global_buffer
      - .actual_access:  write_only
        .address_space:  global
        .offset:         80
        .size:           8
        .value_kind:     global_buffer
      - .offset:         88
        .size:           4
        .value_kind:     by_value
      - .offset:         92
        .size:           4
        .value_kind:     by_value
    .group_segment_fixed_size: 0
    .kernarg_segment_align: 8
    .kernarg_segment_size: 96
    .language:       OpenCL C
    .language_version:
      - 2
      - 0
    .max_flat_workgroup_size: 16
    .name:           _ZN9rocsparseL23gebsr2gebsr_fast_kernelIL20rocsparse_direction_1ELi16ELi8EdEEvii21rocsparse_index_base_PKT2_PKiS7_iiiiS2_PS3_PiS9_ii
    .private_segment_fixed_size: 0
    .sgpr_count:     46
    .sgpr_spill_count: 0
    .symbol:         _ZN9rocsparseL23gebsr2gebsr_fast_kernelIL20rocsparse_direction_1ELi16ELi8EdEEvii21rocsparse_index_base_PKT2_PKiS7_iiiiS2_PS3_PiS9_ii.kd
    .uniform_work_group_size: 1
    .uses_dynamic_stack: false
    .vgpr_count:     23
    .vgpr_spill_count: 0
    .wavefront_size: 64
  - .args:
      - .offset:         0
        .size:           4
        .value_kind:     by_value
      - .offset:         4
        .size:           4
        .value_kind:     by_value
      - .offset:         8
        .size:           4
        .value_kind:     by_value
      - .actual_access:  read_only
        .address_space:  global
        .offset:         16
        .size:           8
        .value_kind:     global_buffer
      - .actual_access:  read_only
        .address_space:  global
        .offset:         24
        .size:           8
        .value_kind:     global_buffer
      - .actual_access:  read_only
        .address_space:  global
        .offset:         32
        .size:           8
        .value_kind:     global_buffer
      - .offset:         40
        .size:           4
        .value_kind:     by_value
      - .offset:         44
        .size:           4
        .value_kind:     by_value
      - .offset:         48
        .size:           4
        .value_kind:     by_value
      - .offset:         52
        .size:           4
        .value_kind:     by_value
      - .offset:         56
        .size:           4
        .value_kind:     by_value
      - .actual_access:  write_only
        .address_space:  global
        .offset:         64
        .size:           8
        .value_kind:     global_buffer
      - .actual_access:  read_only
        .address_space:  global
        .offset:         72
        .size:           8
        .value_kind:     global_buffer
      - .actual_access:  write_only
        .address_space:  global
        .offset:         80
        .size:           8
        .value_kind:     global_buffer
      - .offset:         88
        .size:           4
        .value_kind:     by_value
      - .offset:         92
        .size:           4
        .value_kind:     by_value
    .group_segment_fixed_size: 0
    .kernarg_segment_align: 8
    .kernarg_segment_size: 96
    .language:       OpenCL C
    .language_version:
      - 2
      - 0
    .max_flat_workgroup_size: 16
    .name:           _ZN9rocsparseL23gebsr2gebsr_fast_kernelIL20rocsparse_direction_1ELi16ELi16EdEEvii21rocsparse_index_base_PKT2_PKiS7_iiiiS2_PS3_PiS9_ii
    .private_segment_fixed_size: 0
    .sgpr_count:     48
    .sgpr_spill_count: 0
    .symbol:         _ZN9rocsparseL23gebsr2gebsr_fast_kernelIL20rocsparse_direction_1ELi16ELi16EdEEvii21rocsparse_index_base_PKT2_PKiS7_iiiiS2_PS3_PiS9_ii.kd
    .uniform_work_group_size: 1
    .uses_dynamic_stack: false
    .vgpr_count:     21
    .vgpr_spill_count: 0
    .wavefront_size: 64
  - .args:
      - .offset:         0
        .size:           4
        .value_kind:     by_value
      - .offset:         4
        .size:           4
        .value_kind:     by_value
      - .offset:         8
        .size:           4
        .value_kind:     by_value
      - .actual_access:  read_only
        .address_space:  global
        .offset:         16
        .size:           8
        .value_kind:     global_buffer
      - .actual_access:  read_only
        .address_space:  global
        .offset:         24
        .size:           8
        .value_kind:     global_buffer
      - .actual_access:  read_only
        .address_space:  global
        .offset:         32
        .size:           8
        .value_kind:     global_buffer
      - .offset:         40
        .size:           4
        .value_kind:     by_value
      - .offset:         44
        .size:           4
        .value_kind:     by_value
      - .offset:         48
        .size:           4
        .value_kind:     by_value
      - .offset:         52
        .size:           4
        .value_kind:     by_value
      - .offset:         56
        .size:           4
        .value_kind:     by_value
      - .actual_access:  write_only
        .address_space:  global
        .offset:         64
        .size:           8
        .value_kind:     global_buffer
      - .actual_access:  read_only
        .address_space:  global
        .offset:         72
        .size:           8
        .value_kind:     global_buffer
      - .actual_access:  write_only
        .address_space:  global
        .offset:         80
        .size:           8
        .value_kind:     global_buffer
      - .offset:         88
        .size:           4
        .value_kind:     by_value
      - .offset:         92
        .size:           4
        .value_kind:     by_value
    .group_segment_fixed_size: 0
    .kernarg_segment_align: 8
    .kernarg_segment_size: 96
    .language:       OpenCL C
    .language_version:
      - 2
      - 0
    .max_flat_workgroup_size: 32
    .name:           _ZN9rocsparseL23gebsr2gebsr_fast_kernelIL20rocsparse_direction_1ELi32ELi32EdEEvii21rocsparse_index_base_PKT2_PKiS7_iiiiS2_PS3_PiS9_ii
    .private_segment_fixed_size: 0
    .sgpr_count:     48
    .sgpr_spill_count: 0
    .symbol:         _ZN9rocsparseL23gebsr2gebsr_fast_kernelIL20rocsparse_direction_1ELi32ELi32EdEEvii21rocsparse_index_base_PKT2_PKiS7_iiiiS2_PS3_PiS9_ii.kd
    .uniform_work_group_size: 1
    .uses_dynamic_stack: false
    .vgpr_count:     21
    .vgpr_spill_count: 0
    .wavefront_size: 64
  - .args:
      - .offset:         0
        .size:           4
        .value_kind:     by_value
      - .offset:         4
        .size:           4
        .value_kind:     by_value
      - .offset:         8
        .size:           4
        .value_kind:     by_value
      - .actual_access:  read_only
        .address_space:  global
        .offset:         16
        .size:           8
        .value_kind:     global_buffer
      - .actual_access:  read_only
        .address_space:  global
        .offset:         24
        .size:           8
        .value_kind:     global_buffer
      - .actual_access:  read_only
        .address_space:  global
        .offset:         32
        .size:           8
        .value_kind:     global_buffer
      - .offset:         40
        .size:           4
        .value_kind:     by_value
      - .offset:         44
        .size:           4
        .value_kind:     by_value
      - .offset:         48
        .size:           4
        .value_kind:     by_value
      - .offset:         52
        .size:           4
        .value_kind:     by_value
      - .offset:         56
        .size:           4
        .value_kind:     by_value
      - .actual_access:  write_only
        .address_space:  global
        .offset:         64
        .size:           8
        .value_kind:     global_buffer
      - .actual_access:  read_only
        .address_space:  global
        .offset:         72
        .size:           8
        .value_kind:     global_buffer
      - .actual_access:  write_only
        .address_space:  global
        .offset:         80
        .size:           8
        .value_kind:     global_buffer
      - .offset:         88
        .size:           4
        .value_kind:     by_value
      - .offset:         92
        .size:           4
        .value_kind:     by_value
    .group_segment_fixed_size: 0
    .kernarg_segment_align: 8
    .kernarg_segment_size: 96
    .language:       OpenCL C
    .language_version:
      - 2
      - 0
    .max_flat_workgroup_size: 16
    .name:           _ZN9rocsparseL23gebsr2gebsr_fast_kernelIL20rocsparse_direction_0ELi16ELi2E21rocsparse_complex_numIfEEEvii21rocsparse_index_base_PKT2_PKiS9_iiiiS4_PS5_PiSB_ii
    .private_segment_fixed_size: 0
    .sgpr_count:     46
    .sgpr_spill_count: 0
    .symbol:         _ZN9rocsparseL23gebsr2gebsr_fast_kernelIL20rocsparse_direction_0ELi16ELi2E21rocsparse_complex_numIfEEEvii21rocsparse_index_base_PKT2_PKiS9_iiiiS4_PS5_PiSB_ii.kd
    .uniform_work_group_size: 1
    .uses_dynamic_stack: false
    .vgpr_count:     23
    .vgpr_spill_count: 0
    .wavefront_size: 64
  - .args:
      - .offset:         0
        .size:           4
        .value_kind:     by_value
      - .offset:         4
        .size:           4
        .value_kind:     by_value
      - .offset:         8
        .size:           4
        .value_kind:     by_value
      - .actual_access:  read_only
        .address_space:  global
        .offset:         16
        .size:           8
        .value_kind:     global_buffer
      - .actual_access:  read_only
        .address_space:  global
        .offset:         24
        .size:           8
        .value_kind:     global_buffer
      - .actual_access:  read_only
        .address_space:  global
        .offset:         32
        .size:           8
        .value_kind:     global_buffer
      - .offset:         40
        .size:           4
        .value_kind:     by_value
      - .offset:         44
        .size:           4
        .value_kind:     by_value
      - .offset:         48
        .size:           4
        .value_kind:     by_value
      - .offset:         52
        .size:           4
        .value_kind:     by_value
      - .offset:         56
        .size:           4
        .value_kind:     by_value
      - .actual_access:  write_only
        .address_space:  global
        .offset:         64
        .size:           8
        .value_kind:     global_buffer
      - .actual_access:  read_only
        .address_space:  global
        .offset:         72
        .size:           8
        .value_kind:     global_buffer
      - .actual_access:  write_only
        .address_space:  global
        .offset:         80
        .size:           8
        .value_kind:     global_buffer
      - .offset:         88
        .size:           4
        .value_kind:     by_value
      - .offset:         92
        .size:           4
        .value_kind:     by_value
    .group_segment_fixed_size: 0
    .kernarg_segment_align: 8
    .kernarg_segment_size: 96
    .language:       OpenCL C
    .language_version:
      - 2
      - 0
    .max_flat_workgroup_size: 16
    .name:           _ZN9rocsparseL23gebsr2gebsr_fast_kernelIL20rocsparse_direction_0ELi16ELi4E21rocsparse_complex_numIfEEEvii21rocsparse_index_base_PKT2_PKiS9_iiiiS4_PS5_PiSB_ii
    .private_segment_fixed_size: 0
    .sgpr_count:     46
    .sgpr_spill_count: 0
    .symbol:         _ZN9rocsparseL23gebsr2gebsr_fast_kernelIL20rocsparse_direction_0ELi16ELi4E21rocsparse_complex_numIfEEEvii21rocsparse_index_base_PKT2_PKiS9_iiiiS4_PS5_PiSB_ii.kd
    .uniform_work_group_size: 1
    .uses_dynamic_stack: false
    .vgpr_count:     23
    .vgpr_spill_count: 0
    .wavefront_size: 64
  - .args:
      - .offset:         0
        .size:           4
        .value_kind:     by_value
      - .offset:         4
        .size:           4
        .value_kind:     by_value
      - .offset:         8
        .size:           4
        .value_kind:     by_value
      - .actual_access:  read_only
        .address_space:  global
        .offset:         16
        .size:           8
        .value_kind:     global_buffer
      - .actual_access:  read_only
        .address_space:  global
        .offset:         24
        .size:           8
        .value_kind:     global_buffer
      - .actual_access:  read_only
        .address_space:  global
        .offset:         32
        .size:           8
        .value_kind:     global_buffer
      - .offset:         40
        .size:           4
        .value_kind:     by_value
      - .offset:         44
        .size:           4
        .value_kind:     by_value
      - .offset:         48
        .size:           4
        .value_kind:     by_value
      - .offset:         52
        .size:           4
        .value_kind:     by_value
      - .offset:         56
        .size:           4
        .value_kind:     by_value
      - .actual_access:  write_only
        .address_space:  global
        .offset:         64
        .size:           8
        .value_kind:     global_buffer
      - .actual_access:  read_only
        .address_space:  global
        .offset:         72
        .size:           8
        .value_kind:     global_buffer
      - .actual_access:  write_only
        .address_space:  global
        .offset:         80
        .size:           8
        .value_kind:     global_buffer
      - .offset:         88
        .size:           4
        .value_kind:     by_value
      - .offset:         92
        .size:           4
        .value_kind:     by_value
    .group_segment_fixed_size: 0
    .kernarg_segment_align: 8
    .kernarg_segment_size: 96
    .language:       OpenCL C
    .language_version:
      - 2
      - 0
    .max_flat_workgroup_size: 16
    .name:           _ZN9rocsparseL23gebsr2gebsr_fast_kernelIL20rocsparse_direction_0ELi16ELi8E21rocsparse_complex_numIfEEEvii21rocsparse_index_base_PKT2_PKiS9_iiiiS4_PS5_PiSB_ii
    .private_segment_fixed_size: 0
    .sgpr_count:     46
    .sgpr_spill_count: 0
    .symbol:         _ZN9rocsparseL23gebsr2gebsr_fast_kernelIL20rocsparse_direction_0ELi16ELi8E21rocsparse_complex_numIfEEEvii21rocsparse_index_base_PKT2_PKiS9_iiiiS4_PS5_PiSB_ii.kd
    .uniform_work_group_size: 1
    .uses_dynamic_stack: false
    .vgpr_count:     23
    .vgpr_spill_count: 0
    .wavefront_size: 64
  - .args:
      - .offset:         0
        .size:           4
        .value_kind:     by_value
      - .offset:         4
        .size:           4
        .value_kind:     by_value
      - .offset:         8
        .size:           4
        .value_kind:     by_value
      - .actual_access:  read_only
        .address_space:  global
        .offset:         16
        .size:           8
        .value_kind:     global_buffer
      - .actual_access:  read_only
        .address_space:  global
        .offset:         24
        .size:           8
        .value_kind:     global_buffer
      - .actual_access:  read_only
        .address_space:  global
        .offset:         32
        .size:           8
        .value_kind:     global_buffer
      - .offset:         40
        .size:           4
        .value_kind:     by_value
      - .offset:         44
        .size:           4
        .value_kind:     by_value
      - .offset:         48
        .size:           4
        .value_kind:     by_value
      - .offset:         52
        .size:           4
        .value_kind:     by_value
      - .offset:         56
        .size:           4
        .value_kind:     by_value
      - .actual_access:  write_only
        .address_space:  global
        .offset:         64
        .size:           8
        .value_kind:     global_buffer
      - .actual_access:  read_only
        .address_space:  global
        .offset:         72
        .size:           8
        .value_kind:     global_buffer
      - .actual_access:  write_only
        .address_space:  global
        .offset:         80
        .size:           8
        .value_kind:     global_buffer
      - .offset:         88
        .size:           4
        .value_kind:     by_value
      - .offset:         92
        .size:           4
        .value_kind:     by_value
    .group_segment_fixed_size: 0
    .kernarg_segment_align: 8
    .kernarg_segment_size: 96
    .language:       OpenCL C
    .language_version:
      - 2
      - 0
    .max_flat_workgroup_size: 16
    .name:           _ZN9rocsparseL23gebsr2gebsr_fast_kernelIL20rocsparse_direction_0ELi16ELi16E21rocsparse_complex_numIfEEEvii21rocsparse_index_base_PKT2_PKiS9_iiiiS4_PS5_PiSB_ii
    .private_segment_fixed_size: 0
    .sgpr_count:     48
    .sgpr_spill_count: 0
    .symbol:         _ZN9rocsparseL23gebsr2gebsr_fast_kernelIL20rocsparse_direction_0ELi16ELi16E21rocsparse_complex_numIfEEEvii21rocsparse_index_base_PKT2_PKiS9_iiiiS4_PS5_PiSB_ii.kd
    .uniform_work_group_size: 1
    .uses_dynamic_stack: false
    .vgpr_count:     21
    .vgpr_spill_count: 0
    .wavefront_size: 64
  - .args:
      - .offset:         0
        .size:           4
        .value_kind:     by_value
      - .offset:         4
        .size:           4
        .value_kind:     by_value
      - .offset:         8
        .size:           4
        .value_kind:     by_value
      - .actual_access:  read_only
        .address_space:  global
        .offset:         16
        .size:           8
        .value_kind:     global_buffer
      - .actual_access:  read_only
        .address_space:  global
        .offset:         24
        .size:           8
        .value_kind:     global_buffer
      - .actual_access:  read_only
        .address_space:  global
        .offset:         32
        .size:           8
        .value_kind:     global_buffer
      - .offset:         40
        .size:           4
        .value_kind:     by_value
      - .offset:         44
        .size:           4
        .value_kind:     by_value
      - .offset:         48
        .size:           4
        .value_kind:     by_value
      - .offset:         52
        .size:           4
        .value_kind:     by_value
      - .offset:         56
        .size:           4
        .value_kind:     by_value
      - .actual_access:  write_only
        .address_space:  global
        .offset:         64
        .size:           8
        .value_kind:     global_buffer
      - .actual_access:  read_only
        .address_space:  global
        .offset:         72
        .size:           8
        .value_kind:     global_buffer
      - .actual_access:  write_only
        .address_space:  global
        .offset:         80
        .size:           8
        .value_kind:     global_buffer
      - .offset:         88
        .size:           4
        .value_kind:     by_value
      - .offset:         92
        .size:           4
        .value_kind:     by_value
    .group_segment_fixed_size: 0
    .kernarg_segment_align: 8
    .kernarg_segment_size: 96
    .language:       OpenCL C
    .language_version:
      - 2
      - 0
    .max_flat_workgroup_size: 32
    .name:           _ZN9rocsparseL23gebsr2gebsr_fast_kernelIL20rocsparse_direction_0ELi32ELi32E21rocsparse_complex_numIfEEEvii21rocsparse_index_base_PKT2_PKiS9_iiiiS4_PS5_PiSB_ii
    .private_segment_fixed_size: 0
    .sgpr_count:     48
    .sgpr_spill_count: 0
    .symbol:         _ZN9rocsparseL23gebsr2gebsr_fast_kernelIL20rocsparse_direction_0ELi32ELi32E21rocsparse_complex_numIfEEEvii21rocsparse_index_base_PKT2_PKiS9_iiiiS4_PS5_PiSB_ii.kd
    .uniform_work_group_size: 1
    .uses_dynamic_stack: false
    .vgpr_count:     21
    .vgpr_spill_count: 0
    .wavefront_size: 64
  - .args:
      - .offset:         0
        .size:           4
        .value_kind:     by_value
      - .offset:         4
        .size:           4
        .value_kind:     by_value
      - .offset:         8
        .size:           4
        .value_kind:     by_value
      - .actual_access:  read_only
        .address_space:  global
        .offset:         16
        .size:           8
        .value_kind:     global_buffer
      - .actual_access:  read_only
        .address_space:  global
        .offset:         24
        .size:           8
        .value_kind:     global_buffer
      - .actual_access:  read_only
        .address_space:  global
        .offset:         32
        .size:           8
        .value_kind:     global_buffer
      - .offset:         40
        .size:           4
        .value_kind:     by_value
      - .offset:         44
        .size:           4
        .value_kind:     by_value
      - .offset:         48
        .size:           4
        .value_kind:     by_value
      - .offset:         52
        .size:           4
        .value_kind:     by_value
      - .offset:         56
        .size:           4
        .value_kind:     by_value
      - .actual_access:  write_only
        .address_space:  global
        .offset:         64
        .size:           8
        .value_kind:     global_buffer
      - .actual_access:  read_only
        .address_space:  global
        .offset:         72
        .size:           8
        .value_kind:     global_buffer
      - .actual_access:  write_only
        .address_space:  global
        .offset:         80
        .size:           8
        .value_kind:     global_buffer
      - .offset:         88
        .size:           4
        .value_kind:     by_value
      - .offset:         92
        .size:           4
        .value_kind:     by_value
    .group_segment_fixed_size: 0
    .kernarg_segment_align: 8
    .kernarg_segment_size: 96
    .language:       OpenCL C
    .language_version:
      - 2
      - 0
    .max_flat_workgroup_size: 16
    .name:           _ZN9rocsparseL23gebsr2gebsr_fast_kernelIL20rocsparse_direction_1ELi16ELi2E21rocsparse_complex_numIfEEEvii21rocsparse_index_base_PKT2_PKiS9_iiiiS4_PS5_PiSB_ii
    .private_segment_fixed_size: 0
    .sgpr_count:     46
    .sgpr_spill_count: 0
    .symbol:         _ZN9rocsparseL23gebsr2gebsr_fast_kernelIL20rocsparse_direction_1ELi16ELi2E21rocsparse_complex_numIfEEEvii21rocsparse_index_base_PKT2_PKiS9_iiiiS4_PS5_PiSB_ii.kd
    .uniform_work_group_size: 1
    .uses_dynamic_stack: false
    .vgpr_count:     23
    .vgpr_spill_count: 0
    .wavefront_size: 64
  - .args:
      - .offset:         0
        .size:           4
        .value_kind:     by_value
      - .offset:         4
        .size:           4
        .value_kind:     by_value
      - .offset:         8
        .size:           4
        .value_kind:     by_value
      - .actual_access:  read_only
        .address_space:  global
        .offset:         16
        .size:           8
        .value_kind:     global_buffer
      - .actual_access:  read_only
        .address_space:  global
        .offset:         24
        .size:           8
        .value_kind:     global_buffer
      - .actual_access:  read_only
        .address_space:  global
        .offset:         32
        .size:           8
        .value_kind:     global_buffer
      - .offset:         40
        .size:           4
        .value_kind:     by_value
      - .offset:         44
        .size:           4
        .value_kind:     by_value
      - .offset:         48
        .size:           4
        .value_kind:     by_value
      - .offset:         52
        .size:           4
        .value_kind:     by_value
      - .offset:         56
        .size:           4
        .value_kind:     by_value
      - .actual_access:  write_only
        .address_space:  global
        .offset:         64
        .size:           8
        .value_kind:     global_buffer
      - .actual_access:  read_only
        .address_space:  global
        .offset:         72
        .size:           8
        .value_kind:     global_buffer
      - .actual_access:  write_only
        .address_space:  global
        .offset:         80
        .size:           8
        .value_kind:     global_buffer
      - .offset:         88
        .size:           4
        .value_kind:     by_value
      - .offset:         92
        .size:           4
        .value_kind:     by_value
    .group_segment_fixed_size: 0
    .kernarg_segment_align: 8
    .kernarg_segment_size: 96
    .language:       OpenCL C
    .language_version:
      - 2
      - 0
    .max_flat_workgroup_size: 16
    .name:           _ZN9rocsparseL23gebsr2gebsr_fast_kernelIL20rocsparse_direction_1ELi16ELi4E21rocsparse_complex_numIfEEEvii21rocsparse_index_base_PKT2_PKiS9_iiiiS4_PS5_PiSB_ii
    .private_segment_fixed_size: 0
    .sgpr_count:     46
    .sgpr_spill_count: 0
    .symbol:         _ZN9rocsparseL23gebsr2gebsr_fast_kernelIL20rocsparse_direction_1ELi16ELi4E21rocsparse_complex_numIfEEEvii21rocsparse_index_base_PKT2_PKiS9_iiiiS4_PS5_PiSB_ii.kd
    .uniform_work_group_size: 1
    .uses_dynamic_stack: false
    .vgpr_count:     23
    .vgpr_spill_count: 0
    .wavefront_size: 64
  - .args:
      - .offset:         0
        .size:           4
        .value_kind:     by_value
      - .offset:         4
        .size:           4
        .value_kind:     by_value
      - .offset:         8
        .size:           4
        .value_kind:     by_value
      - .actual_access:  read_only
        .address_space:  global
        .offset:         16
        .size:           8
        .value_kind:     global_buffer
      - .actual_access:  read_only
        .address_space:  global
        .offset:         24
        .size:           8
        .value_kind:     global_buffer
      - .actual_access:  read_only
        .address_space:  global
        .offset:         32
        .size:           8
        .value_kind:     global_buffer
      - .offset:         40
        .size:           4
        .value_kind:     by_value
      - .offset:         44
        .size:           4
        .value_kind:     by_value
      - .offset:         48
        .size:           4
        .value_kind:     by_value
      - .offset:         52
        .size:           4
        .value_kind:     by_value
      - .offset:         56
        .size:           4
        .value_kind:     by_value
      - .actual_access:  write_only
        .address_space:  global
        .offset:         64
        .size:           8
        .value_kind:     global_buffer
      - .actual_access:  read_only
        .address_space:  global
        .offset:         72
        .size:           8
        .value_kind:     global_buffer
      - .actual_access:  write_only
        .address_space:  global
        .offset:         80
        .size:           8
        .value_kind:     global_buffer
      - .offset:         88
        .size:           4
        .value_kind:     by_value
      - .offset:         92
        .size:           4
        .value_kind:     by_value
    .group_segment_fixed_size: 0
    .kernarg_segment_align: 8
    .kernarg_segment_size: 96
    .language:       OpenCL C
    .language_version:
      - 2
      - 0
    .max_flat_workgroup_size: 16
    .name:           _ZN9rocsparseL23gebsr2gebsr_fast_kernelIL20rocsparse_direction_1ELi16ELi8E21rocsparse_complex_numIfEEEvii21rocsparse_index_base_PKT2_PKiS9_iiiiS4_PS5_PiSB_ii
    .private_segment_fixed_size: 0
    .sgpr_count:     46
    .sgpr_spill_count: 0
    .symbol:         _ZN9rocsparseL23gebsr2gebsr_fast_kernelIL20rocsparse_direction_1ELi16ELi8E21rocsparse_complex_numIfEEEvii21rocsparse_index_base_PKT2_PKiS9_iiiiS4_PS5_PiSB_ii.kd
    .uniform_work_group_size: 1
    .uses_dynamic_stack: false
    .vgpr_count:     23
    .vgpr_spill_count: 0
    .wavefront_size: 64
  - .args:
      - .offset:         0
        .size:           4
        .value_kind:     by_value
      - .offset:         4
        .size:           4
        .value_kind:     by_value
      - .offset:         8
        .size:           4
        .value_kind:     by_value
      - .actual_access:  read_only
        .address_space:  global
        .offset:         16
        .size:           8
        .value_kind:     global_buffer
      - .actual_access:  read_only
        .address_space:  global
        .offset:         24
        .size:           8
        .value_kind:     global_buffer
      - .actual_access:  read_only
        .address_space:  global
        .offset:         32
        .size:           8
        .value_kind:     global_buffer
      - .offset:         40
        .size:           4
        .value_kind:     by_value
      - .offset:         44
        .size:           4
        .value_kind:     by_value
      - .offset:         48
        .size:           4
        .value_kind:     by_value
      - .offset:         52
        .size:           4
        .value_kind:     by_value
      - .offset:         56
        .size:           4
        .value_kind:     by_value
      - .actual_access:  write_only
        .address_space:  global
        .offset:         64
        .size:           8
        .value_kind:     global_buffer
      - .actual_access:  read_only
        .address_space:  global
        .offset:         72
        .size:           8
        .value_kind:     global_buffer
      - .actual_access:  write_only
        .address_space:  global
        .offset:         80
        .size:           8
        .value_kind:     global_buffer
      - .offset:         88
        .size:           4
        .value_kind:     by_value
      - .offset:         92
        .size:           4
        .value_kind:     by_value
    .group_segment_fixed_size: 0
    .kernarg_segment_align: 8
    .kernarg_segment_size: 96
    .language:       OpenCL C
    .language_version:
      - 2
      - 0
    .max_flat_workgroup_size: 16
    .name:           _ZN9rocsparseL23gebsr2gebsr_fast_kernelIL20rocsparse_direction_1ELi16ELi16E21rocsparse_complex_numIfEEEvii21rocsparse_index_base_PKT2_PKiS9_iiiiS4_PS5_PiSB_ii
    .private_segment_fixed_size: 0
    .sgpr_count:     48
    .sgpr_spill_count: 0
    .symbol:         _ZN9rocsparseL23gebsr2gebsr_fast_kernelIL20rocsparse_direction_1ELi16ELi16E21rocsparse_complex_numIfEEEvii21rocsparse_index_base_PKT2_PKiS9_iiiiS4_PS5_PiSB_ii.kd
    .uniform_work_group_size: 1
    .uses_dynamic_stack: false
    .vgpr_count:     21
    .vgpr_spill_count: 0
    .wavefront_size: 64
  - .args:
      - .offset:         0
        .size:           4
        .value_kind:     by_value
      - .offset:         4
        .size:           4
        .value_kind:     by_value
      - .offset:         8
        .size:           4
        .value_kind:     by_value
      - .actual_access:  read_only
        .address_space:  global
        .offset:         16
        .size:           8
        .value_kind:     global_buffer
      - .actual_access:  read_only
        .address_space:  global
        .offset:         24
        .size:           8
        .value_kind:     global_buffer
      - .actual_access:  read_only
        .address_space:  global
        .offset:         32
        .size:           8
        .value_kind:     global_buffer
      - .offset:         40
        .size:           4
        .value_kind:     by_value
      - .offset:         44
        .size:           4
        .value_kind:     by_value
      - .offset:         48
        .size:           4
        .value_kind:     by_value
      - .offset:         52
        .size:           4
        .value_kind:     by_value
      - .offset:         56
        .size:           4
        .value_kind:     by_value
      - .actual_access:  write_only
        .address_space:  global
        .offset:         64
        .size:           8
        .value_kind:     global_buffer
      - .actual_access:  read_only
        .address_space:  global
        .offset:         72
        .size:           8
        .value_kind:     global_buffer
      - .actual_access:  write_only
        .address_space:  global
        .offset:         80
        .size:           8
        .value_kind:     global_buffer
      - .offset:         88
        .size:           4
        .value_kind:     by_value
      - .offset:         92
        .size:           4
        .value_kind:     by_value
    .group_segment_fixed_size: 0
    .kernarg_segment_align: 8
    .kernarg_segment_size: 96
    .language:       OpenCL C
    .language_version:
      - 2
      - 0
    .max_flat_workgroup_size: 32
    .name:           _ZN9rocsparseL23gebsr2gebsr_fast_kernelIL20rocsparse_direction_1ELi32ELi32E21rocsparse_complex_numIfEEEvii21rocsparse_index_base_PKT2_PKiS9_iiiiS4_PS5_PiSB_ii
    .private_segment_fixed_size: 0
    .sgpr_count:     48
    .sgpr_spill_count: 0
    .symbol:         _ZN9rocsparseL23gebsr2gebsr_fast_kernelIL20rocsparse_direction_1ELi32ELi32E21rocsparse_complex_numIfEEEvii21rocsparse_index_base_PKT2_PKiS9_iiiiS4_PS5_PiSB_ii.kd
    .uniform_work_group_size: 1
    .uses_dynamic_stack: false
    .vgpr_count:     21
    .vgpr_spill_count: 0
    .wavefront_size: 64
  - .args:
      - .offset:         0
        .size:           4
        .value_kind:     by_value
      - .offset:         4
        .size:           4
        .value_kind:     by_value
      - .offset:         8
        .size:           4
        .value_kind:     by_value
      - .actual_access:  read_only
        .address_space:  global
        .offset:         16
        .size:           8
        .value_kind:     global_buffer
      - .actual_access:  read_only
        .address_space:  global
        .offset:         24
        .size:           8
        .value_kind:     global_buffer
      - .actual_access:  read_only
        .address_space:  global
        .offset:         32
        .size:           8
        .value_kind:     global_buffer
      - .offset:         40
        .size:           4
        .value_kind:     by_value
      - .offset:         44
        .size:           4
        .value_kind:     by_value
      - .offset:         48
        .size:           4
        .value_kind:     by_value
      - .offset:         52
        .size:           4
        .value_kind:     by_value
      - .offset:         56
        .size:           4
        .value_kind:     by_value
      - .actual_access:  write_only
        .address_space:  global
        .offset:         64
        .size:           8
        .value_kind:     global_buffer
      - .actual_access:  read_only
        .address_space:  global
        .offset:         72
        .size:           8
        .value_kind:     global_buffer
      - .actual_access:  write_only
        .address_space:  global
        .offset:         80
        .size:           8
        .value_kind:     global_buffer
      - .offset:         88
        .size:           4
        .value_kind:     by_value
      - .offset:         92
        .size:           4
        .value_kind:     by_value
    .group_segment_fixed_size: 0
    .kernarg_segment_align: 8
    .kernarg_segment_size: 96
    .language:       OpenCL C
    .language_version:
      - 2
      - 0
    .max_flat_workgroup_size: 16
    .name:           _ZN9rocsparseL23gebsr2gebsr_fast_kernelIL20rocsparse_direction_0ELi16ELi2E21rocsparse_complex_numIdEEEvii21rocsparse_index_base_PKT2_PKiS9_iiiiS4_PS5_PiSB_ii
    .private_segment_fixed_size: 0
    .sgpr_count:     46
    .sgpr_spill_count: 0
    .symbol:         _ZN9rocsparseL23gebsr2gebsr_fast_kernelIL20rocsparse_direction_0ELi16ELi2E21rocsparse_complex_numIdEEEvii21rocsparse_index_base_PKT2_PKiS9_iiiiS4_PS5_PiSB_ii.kd
    .uniform_work_group_size: 1
    .uses_dynamic_stack: false
    .vgpr_count:     23
    .vgpr_spill_count: 0
    .wavefront_size: 64
  - .args:
      - .offset:         0
        .size:           4
        .value_kind:     by_value
      - .offset:         4
        .size:           4
        .value_kind:     by_value
      - .offset:         8
        .size:           4
        .value_kind:     by_value
      - .actual_access:  read_only
        .address_space:  global
        .offset:         16
        .size:           8
        .value_kind:     global_buffer
      - .actual_access:  read_only
        .address_space:  global
        .offset:         24
        .size:           8
        .value_kind:     global_buffer
      - .actual_access:  read_only
        .address_space:  global
        .offset:         32
        .size:           8
        .value_kind:     global_buffer
      - .offset:         40
        .size:           4
        .value_kind:     by_value
      - .offset:         44
        .size:           4
        .value_kind:     by_value
      - .offset:         48
        .size:           4
        .value_kind:     by_value
      - .offset:         52
        .size:           4
        .value_kind:     by_value
      - .offset:         56
        .size:           4
        .value_kind:     by_value
      - .actual_access:  write_only
        .address_space:  global
        .offset:         64
        .size:           8
        .value_kind:     global_buffer
      - .actual_access:  read_only
        .address_space:  global
        .offset:         72
        .size:           8
        .value_kind:     global_buffer
      - .actual_access:  write_only
        .address_space:  global
        .offset:         80
        .size:           8
        .value_kind:     global_buffer
      - .offset:         88
        .size:           4
        .value_kind:     by_value
      - .offset:         92
        .size:           4
        .value_kind:     by_value
    .group_segment_fixed_size: 0
    .kernarg_segment_align: 8
    .kernarg_segment_size: 96
    .language:       OpenCL C
    .language_version:
      - 2
      - 0
    .max_flat_workgroup_size: 16
    .name:           _ZN9rocsparseL23gebsr2gebsr_fast_kernelIL20rocsparse_direction_0ELi16ELi4E21rocsparse_complex_numIdEEEvii21rocsparse_index_base_PKT2_PKiS9_iiiiS4_PS5_PiSB_ii
    .private_segment_fixed_size: 0
    .sgpr_count:     46
    .sgpr_spill_count: 0
    .symbol:         _ZN9rocsparseL23gebsr2gebsr_fast_kernelIL20rocsparse_direction_0ELi16ELi4E21rocsparse_complex_numIdEEEvii21rocsparse_index_base_PKT2_PKiS9_iiiiS4_PS5_PiSB_ii.kd
    .uniform_work_group_size: 1
    .uses_dynamic_stack: false
    .vgpr_count:     23
    .vgpr_spill_count: 0
    .wavefront_size: 64
  - .args:
      - .offset:         0
        .size:           4
        .value_kind:     by_value
      - .offset:         4
        .size:           4
        .value_kind:     by_value
      - .offset:         8
        .size:           4
        .value_kind:     by_value
      - .actual_access:  read_only
        .address_space:  global
        .offset:         16
        .size:           8
        .value_kind:     global_buffer
      - .actual_access:  read_only
        .address_space:  global
        .offset:         24
        .size:           8
        .value_kind:     global_buffer
      - .actual_access:  read_only
        .address_space:  global
        .offset:         32
        .size:           8
        .value_kind:     global_buffer
      - .offset:         40
        .size:           4
        .value_kind:     by_value
      - .offset:         44
        .size:           4
        .value_kind:     by_value
      - .offset:         48
        .size:           4
        .value_kind:     by_value
      - .offset:         52
        .size:           4
        .value_kind:     by_value
      - .offset:         56
        .size:           4
        .value_kind:     by_value
      - .actual_access:  write_only
        .address_space:  global
        .offset:         64
        .size:           8
        .value_kind:     global_buffer
      - .actual_access:  read_only
        .address_space:  global
        .offset:         72
        .size:           8
        .value_kind:     global_buffer
      - .actual_access:  write_only
        .address_space:  global
        .offset:         80
        .size:           8
        .value_kind:     global_buffer
      - .offset:         88
        .size:           4
        .value_kind:     by_value
      - .offset:         92
        .size:           4
        .value_kind:     by_value
    .group_segment_fixed_size: 0
    .kernarg_segment_align: 8
    .kernarg_segment_size: 96
    .language:       OpenCL C
    .language_version:
      - 2
      - 0
    .max_flat_workgroup_size: 16
    .name:           _ZN9rocsparseL23gebsr2gebsr_fast_kernelIL20rocsparse_direction_0ELi16ELi8E21rocsparse_complex_numIdEEEvii21rocsparse_index_base_PKT2_PKiS9_iiiiS4_PS5_PiSB_ii
    .private_segment_fixed_size: 0
    .sgpr_count:     46
    .sgpr_spill_count: 0
    .symbol:         _ZN9rocsparseL23gebsr2gebsr_fast_kernelIL20rocsparse_direction_0ELi16ELi8E21rocsparse_complex_numIdEEEvii21rocsparse_index_base_PKT2_PKiS9_iiiiS4_PS5_PiSB_ii.kd
    .uniform_work_group_size: 1
    .uses_dynamic_stack: false
    .vgpr_count:     23
    .vgpr_spill_count: 0
    .wavefront_size: 64
  - .args:
      - .offset:         0
        .size:           4
        .value_kind:     by_value
      - .offset:         4
        .size:           4
        .value_kind:     by_value
      - .offset:         8
        .size:           4
        .value_kind:     by_value
      - .actual_access:  read_only
        .address_space:  global
        .offset:         16
        .size:           8
        .value_kind:     global_buffer
      - .actual_access:  read_only
        .address_space:  global
        .offset:         24
        .size:           8
        .value_kind:     global_buffer
      - .actual_access:  read_only
        .address_space:  global
        .offset:         32
        .size:           8
        .value_kind:     global_buffer
      - .offset:         40
        .size:           4
        .value_kind:     by_value
      - .offset:         44
        .size:           4
        .value_kind:     by_value
      - .offset:         48
        .size:           4
        .value_kind:     by_value
      - .offset:         52
        .size:           4
        .value_kind:     by_value
      - .offset:         56
        .size:           4
        .value_kind:     by_value
      - .actual_access:  write_only
        .address_space:  global
        .offset:         64
        .size:           8
        .value_kind:     global_buffer
      - .actual_access:  read_only
        .address_space:  global
        .offset:         72
        .size:           8
        .value_kind:     global_buffer
      - .actual_access:  write_only
        .address_space:  global
        .offset:         80
        .size:           8
        .value_kind:     global_buffer
      - .offset:         88
        .size:           4
        .value_kind:     by_value
      - .offset:         92
        .size:           4
        .value_kind:     by_value
    .group_segment_fixed_size: 0
    .kernarg_segment_align: 8
    .kernarg_segment_size: 96
    .language:       OpenCL C
    .language_version:
      - 2
      - 0
    .max_flat_workgroup_size: 16
    .name:           _ZN9rocsparseL23gebsr2gebsr_fast_kernelIL20rocsparse_direction_0ELi16ELi16E21rocsparse_complex_numIdEEEvii21rocsparse_index_base_PKT2_PKiS9_iiiiS4_PS5_PiSB_ii
    .private_segment_fixed_size: 0
    .sgpr_count:     48
    .sgpr_spill_count: 0
    .symbol:         _ZN9rocsparseL23gebsr2gebsr_fast_kernelIL20rocsparse_direction_0ELi16ELi16E21rocsparse_complex_numIdEEEvii21rocsparse_index_base_PKT2_PKiS9_iiiiS4_PS5_PiSB_ii.kd
    .uniform_work_group_size: 1
    .uses_dynamic_stack: false
    .vgpr_count:     23
    .vgpr_spill_count: 0
    .wavefront_size: 64
  - .args:
      - .offset:         0
        .size:           4
        .value_kind:     by_value
      - .offset:         4
        .size:           4
        .value_kind:     by_value
      - .offset:         8
        .size:           4
        .value_kind:     by_value
      - .actual_access:  read_only
        .address_space:  global
        .offset:         16
        .size:           8
        .value_kind:     global_buffer
      - .actual_access:  read_only
        .address_space:  global
        .offset:         24
        .size:           8
        .value_kind:     global_buffer
      - .actual_access:  read_only
        .address_space:  global
        .offset:         32
        .size:           8
        .value_kind:     global_buffer
      - .offset:         40
        .size:           4
        .value_kind:     by_value
      - .offset:         44
        .size:           4
        .value_kind:     by_value
      - .offset:         48
        .size:           4
        .value_kind:     by_value
      - .offset:         52
        .size:           4
        .value_kind:     by_value
      - .offset:         56
        .size:           4
        .value_kind:     by_value
      - .actual_access:  write_only
        .address_space:  global
        .offset:         64
        .size:           8
        .value_kind:     global_buffer
      - .actual_access:  read_only
        .address_space:  global
        .offset:         72
        .size:           8
        .value_kind:     global_buffer
      - .actual_access:  write_only
        .address_space:  global
        .offset:         80
        .size:           8
        .value_kind:     global_buffer
      - .offset:         88
        .size:           4
        .value_kind:     by_value
      - .offset:         92
        .size:           4
        .value_kind:     by_value
    .group_segment_fixed_size: 0
    .kernarg_segment_align: 8
    .kernarg_segment_size: 96
    .language:       OpenCL C
    .language_version:
      - 2
      - 0
    .max_flat_workgroup_size: 32
    .name:           _ZN9rocsparseL23gebsr2gebsr_fast_kernelIL20rocsparse_direction_0ELi32ELi32E21rocsparse_complex_numIdEEEvii21rocsparse_index_base_PKT2_PKiS9_iiiiS4_PS5_PiSB_ii
    .private_segment_fixed_size: 0
    .sgpr_count:     48
    .sgpr_spill_count: 0
    .symbol:         _ZN9rocsparseL23gebsr2gebsr_fast_kernelIL20rocsparse_direction_0ELi32ELi32E21rocsparse_complex_numIdEEEvii21rocsparse_index_base_PKT2_PKiS9_iiiiS4_PS5_PiSB_ii.kd
    .uniform_work_group_size: 1
    .uses_dynamic_stack: false
    .vgpr_count:     23
    .vgpr_spill_count: 0
    .wavefront_size: 64
  - .args:
      - .offset:         0
        .size:           4
        .value_kind:     by_value
      - .offset:         4
        .size:           4
        .value_kind:     by_value
      - .offset:         8
        .size:           4
        .value_kind:     by_value
      - .actual_access:  read_only
        .address_space:  global
        .offset:         16
        .size:           8
        .value_kind:     global_buffer
      - .actual_access:  read_only
        .address_space:  global
        .offset:         24
        .size:           8
        .value_kind:     global_buffer
      - .actual_access:  read_only
        .address_space:  global
        .offset:         32
        .size:           8
        .value_kind:     global_buffer
      - .offset:         40
        .size:           4
        .value_kind:     by_value
      - .offset:         44
        .size:           4
        .value_kind:     by_value
      - .offset:         48
        .size:           4
        .value_kind:     by_value
      - .offset:         52
        .size:           4
        .value_kind:     by_value
      - .offset:         56
        .size:           4
        .value_kind:     by_value
      - .actual_access:  write_only
        .address_space:  global
        .offset:         64
        .size:           8
        .value_kind:     global_buffer
      - .actual_access:  read_only
        .address_space:  global
        .offset:         72
        .size:           8
        .value_kind:     global_buffer
      - .actual_access:  write_only
        .address_space:  global
        .offset:         80
        .size:           8
        .value_kind:     global_buffer
      - .offset:         88
        .size:           4
        .value_kind:     by_value
      - .offset:         92
        .size:           4
        .value_kind:     by_value
    .group_segment_fixed_size: 0
    .kernarg_segment_align: 8
    .kernarg_segment_size: 96
    .language:       OpenCL C
    .language_version:
      - 2
      - 0
    .max_flat_workgroup_size: 16
    .name:           _ZN9rocsparseL23gebsr2gebsr_fast_kernelIL20rocsparse_direction_1ELi16ELi2E21rocsparse_complex_numIdEEEvii21rocsparse_index_base_PKT2_PKiS9_iiiiS4_PS5_PiSB_ii
    .private_segment_fixed_size: 0
    .sgpr_count:     46
    .sgpr_spill_count: 0
    .symbol:         _ZN9rocsparseL23gebsr2gebsr_fast_kernelIL20rocsparse_direction_1ELi16ELi2E21rocsparse_complex_numIdEEEvii21rocsparse_index_base_PKT2_PKiS9_iiiiS4_PS5_PiSB_ii.kd
    .uniform_work_group_size: 1
    .uses_dynamic_stack: false
    .vgpr_count:     23
    .vgpr_spill_count: 0
    .wavefront_size: 64
  - .args:
      - .offset:         0
        .size:           4
        .value_kind:     by_value
      - .offset:         4
        .size:           4
        .value_kind:     by_value
      - .offset:         8
        .size:           4
        .value_kind:     by_value
      - .actual_access:  read_only
        .address_space:  global
        .offset:         16
        .size:           8
        .value_kind:     global_buffer
      - .actual_access:  read_only
        .address_space:  global
        .offset:         24
        .size:           8
        .value_kind:     global_buffer
      - .actual_access:  read_only
        .address_space:  global
        .offset:         32
        .size:           8
        .value_kind:     global_buffer
      - .offset:         40
        .size:           4
        .value_kind:     by_value
      - .offset:         44
        .size:           4
        .value_kind:     by_value
      - .offset:         48
        .size:           4
        .value_kind:     by_value
      - .offset:         52
        .size:           4
        .value_kind:     by_value
      - .offset:         56
        .size:           4
        .value_kind:     by_value
      - .actual_access:  write_only
        .address_space:  global
        .offset:         64
        .size:           8
        .value_kind:     global_buffer
      - .actual_access:  read_only
        .address_space:  global
        .offset:         72
        .size:           8
        .value_kind:     global_buffer
      - .actual_access:  write_only
        .address_space:  global
        .offset:         80
        .size:           8
        .value_kind:     global_buffer
      - .offset:         88
        .size:           4
        .value_kind:     by_value
      - .offset:         92
        .size:           4
        .value_kind:     by_value
    .group_segment_fixed_size: 0
    .kernarg_segment_align: 8
    .kernarg_segment_size: 96
    .language:       OpenCL C
    .language_version:
      - 2
      - 0
    .max_flat_workgroup_size: 16
    .name:           _ZN9rocsparseL23gebsr2gebsr_fast_kernelIL20rocsparse_direction_1ELi16ELi4E21rocsparse_complex_numIdEEEvii21rocsparse_index_base_PKT2_PKiS9_iiiiS4_PS5_PiSB_ii
    .private_segment_fixed_size: 0
    .sgpr_count:     46
    .sgpr_spill_count: 0
    .symbol:         _ZN9rocsparseL23gebsr2gebsr_fast_kernelIL20rocsparse_direction_1ELi16ELi4E21rocsparse_complex_numIdEEEvii21rocsparse_index_base_PKT2_PKiS9_iiiiS4_PS5_PiSB_ii.kd
    .uniform_work_group_size: 1
    .uses_dynamic_stack: false
    .vgpr_count:     23
    .vgpr_spill_count: 0
    .wavefront_size: 64
  - .args:
      - .offset:         0
        .size:           4
        .value_kind:     by_value
      - .offset:         4
        .size:           4
        .value_kind:     by_value
      - .offset:         8
        .size:           4
        .value_kind:     by_value
      - .actual_access:  read_only
        .address_space:  global
        .offset:         16
        .size:           8
        .value_kind:     global_buffer
      - .actual_access:  read_only
        .address_space:  global
        .offset:         24
        .size:           8
        .value_kind:     global_buffer
      - .actual_access:  read_only
        .address_space:  global
        .offset:         32
        .size:           8
        .value_kind:     global_buffer
      - .offset:         40
        .size:           4
        .value_kind:     by_value
      - .offset:         44
        .size:           4
        .value_kind:     by_value
      - .offset:         48
        .size:           4
        .value_kind:     by_value
      - .offset:         52
        .size:           4
        .value_kind:     by_value
      - .offset:         56
        .size:           4
        .value_kind:     by_value
      - .actual_access:  write_only
        .address_space:  global
        .offset:         64
        .size:           8
        .value_kind:     global_buffer
      - .actual_access:  read_only
        .address_space:  global
        .offset:         72
        .size:           8
        .value_kind:     global_buffer
      - .actual_access:  write_only
        .address_space:  global
        .offset:         80
        .size:           8
        .value_kind:     global_buffer
      - .offset:         88
        .size:           4
        .value_kind:     by_value
      - .offset:         92
        .size:           4
        .value_kind:     by_value
    .group_segment_fixed_size: 0
    .kernarg_segment_align: 8
    .kernarg_segment_size: 96
    .language:       OpenCL C
    .language_version:
      - 2
      - 0
    .max_flat_workgroup_size: 16
    .name:           _ZN9rocsparseL23gebsr2gebsr_fast_kernelIL20rocsparse_direction_1ELi16ELi8E21rocsparse_complex_numIdEEEvii21rocsparse_index_base_PKT2_PKiS9_iiiiS4_PS5_PiSB_ii
    .private_segment_fixed_size: 0
    .sgpr_count:     46
    .sgpr_spill_count: 0
    .symbol:         _ZN9rocsparseL23gebsr2gebsr_fast_kernelIL20rocsparse_direction_1ELi16ELi8E21rocsparse_complex_numIdEEEvii21rocsparse_index_base_PKT2_PKiS9_iiiiS4_PS5_PiSB_ii.kd
    .uniform_work_group_size: 1
    .uses_dynamic_stack: false
    .vgpr_count:     23
    .vgpr_spill_count: 0
    .wavefront_size: 64
  - .args:
      - .offset:         0
        .size:           4
        .value_kind:     by_value
      - .offset:         4
        .size:           4
        .value_kind:     by_value
      - .offset:         8
        .size:           4
        .value_kind:     by_value
      - .actual_access:  read_only
        .address_space:  global
        .offset:         16
        .size:           8
        .value_kind:     global_buffer
      - .actual_access:  read_only
        .address_space:  global
        .offset:         24
        .size:           8
        .value_kind:     global_buffer
      - .actual_access:  read_only
        .address_space:  global
        .offset:         32
        .size:           8
        .value_kind:     global_buffer
      - .offset:         40
        .size:           4
        .value_kind:     by_value
      - .offset:         44
        .size:           4
        .value_kind:     by_value
      - .offset:         48
        .size:           4
        .value_kind:     by_value
      - .offset:         52
        .size:           4
        .value_kind:     by_value
      - .offset:         56
        .size:           4
        .value_kind:     by_value
      - .actual_access:  write_only
        .address_space:  global
        .offset:         64
        .size:           8
        .value_kind:     global_buffer
      - .actual_access:  read_only
        .address_space:  global
        .offset:         72
        .size:           8
        .value_kind:     global_buffer
      - .actual_access:  write_only
        .address_space:  global
        .offset:         80
        .size:           8
        .value_kind:     global_buffer
      - .offset:         88
        .size:           4
        .value_kind:     by_value
      - .offset:         92
        .size:           4
        .value_kind:     by_value
    .group_segment_fixed_size: 0
    .kernarg_segment_align: 8
    .kernarg_segment_size: 96
    .language:       OpenCL C
    .language_version:
      - 2
      - 0
    .max_flat_workgroup_size: 16
    .name:           _ZN9rocsparseL23gebsr2gebsr_fast_kernelIL20rocsparse_direction_1ELi16ELi16E21rocsparse_complex_numIdEEEvii21rocsparse_index_base_PKT2_PKiS9_iiiiS4_PS5_PiSB_ii
    .private_segment_fixed_size: 0
    .sgpr_count:     48
    .sgpr_spill_count: 0
    .symbol:         _ZN9rocsparseL23gebsr2gebsr_fast_kernelIL20rocsparse_direction_1ELi16ELi16E21rocsparse_complex_numIdEEEvii21rocsparse_index_base_PKT2_PKiS9_iiiiS4_PS5_PiSB_ii.kd
    .uniform_work_group_size: 1
    .uses_dynamic_stack: false
    .vgpr_count:     23
    .vgpr_spill_count: 0
    .wavefront_size: 64
  - .args:
      - .offset:         0
        .size:           4
        .value_kind:     by_value
      - .offset:         4
        .size:           4
        .value_kind:     by_value
      - .offset:         8
        .size:           4
        .value_kind:     by_value
      - .actual_access:  read_only
        .address_space:  global
        .offset:         16
        .size:           8
        .value_kind:     global_buffer
      - .actual_access:  read_only
        .address_space:  global
        .offset:         24
        .size:           8
        .value_kind:     global_buffer
      - .actual_access:  read_only
        .address_space:  global
        .offset:         32
        .size:           8
        .value_kind:     global_buffer
      - .offset:         40
        .size:           4
        .value_kind:     by_value
      - .offset:         44
        .size:           4
        .value_kind:     by_value
      - .offset:         48
        .size:           4
        .value_kind:     by_value
      - .offset:         52
        .size:           4
        .value_kind:     by_value
      - .offset:         56
        .size:           4
        .value_kind:     by_value
      - .actual_access:  write_only
        .address_space:  global
        .offset:         64
        .size:           8
        .value_kind:     global_buffer
      - .actual_access:  read_only
        .address_space:  global
        .offset:         72
        .size:           8
        .value_kind:     global_buffer
      - .actual_access:  write_only
        .address_space:  global
        .offset:         80
        .size:           8
        .value_kind:     global_buffer
      - .offset:         88
        .size:           4
        .value_kind:     by_value
      - .offset:         92
        .size:           4
        .value_kind:     by_value
    .group_segment_fixed_size: 0
    .kernarg_segment_align: 8
    .kernarg_segment_size: 96
    .language:       OpenCL C
    .language_version:
      - 2
      - 0
    .max_flat_workgroup_size: 32
    .name:           _ZN9rocsparseL23gebsr2gebsr_fast_kernelIL20rocsparse_direction_1ELi32ELi32E21rocsparse_complex_numIdEEEvii21rocsparse_index_base_PKT2_PKiS9_iiiiS4_PS5_PiSB_ii
    .private_segment_fixed_size: 0
    .sgpr_count:     48
    .sgpr_spill_count: 0
    .symbol:         _ZN9rocsparseL23gebsr2gebsr_fast_kernelIL20rocsparse_direction_1ELi32ELi32E21rocsparse_complex_numIdEEEvii21rocsparse_index_base_PKT2_PKiS9_iiiiS4_PS5_PiSB_ii.kd
    .uniform_work_group_size: 1
    .uses_dynamic_stack: false
    .vgpr_count:     23
    .vgpr_spill_count: 0
    .wavefront_size: 64
amdhsa.target:   amdgcn-amd-amdhsa--gfx906
amdhsa.version:
  - 1
  - 2
...

	.end_amdgpu_metadata
